;; amdgpu-corpus repo=ROCm/aiter kind=harvested arch=n/a opt=n/a

/root/src/amdgpu-assembly/repos/ROCm__aiter/hsa/gfx950/fmoe_2stages/fmoe_stage1_bf16_pertokenFp8_g1u1_128x128_pf3.co:	file format elf64-amdgpu

Disassembly of section .text:

0000000000002a00 <_ZN5aiter45fmoe_stage1_bf16_pertokenFp8_g1u1_128x128_pf3E>:
	s_and_b32 s1, s1, 0xffff                                   // 000000002A00: 8601FF01 0000FFFF
	s_load_dwordx2 s[8:9], s[0:1], 0x0                         // 000000002A08: C0060200 00000000
	s_load_dwordx2 s[20:21], s[0:1], 0x10                      // 000000002A10: C0060500 00000010
	s_load_dwordx2 s[24:25], s[0:1], 0x20                      // 000000002A18: C0060600 00000020
	s_load_dwordx2 s[48:49], s[0:1], 0x30                      // 000000002A20: C0060C00 00000030
	s_load_dwordx2 s[28:29], s[0:1], 0x40                      // 000000002A28: C0060700 00000040
	s_load_dwordx2 s[32:33], s[0:1], 0x50                      // 000000002A30: C0060800 00000050
	s_load_dwordx2 s[36:37], s[0:1], 0x60                      // 000000002A38: C0060900 00000060
	s_load_dwordx2 s[12:13], s[0:1], 0x70                      // 000000002A40: C0060300 00000070
	s_load_dwordx2 s[44:45], s[0:1], 0x80                      // 000000002A48: C0060B00 00000080
	s_mov_b32 s89, 0                                           // 000000002A50: BED90080
	s_load_dword s64, s[0:1], 0x90                             // 000000002A54: C0021000 00000090
	s_load_dword s65, s[0:1], 0xa0                             // 000000002A5C: C0021040 000000A0
	s_load_dword s66, s[0:1], 0xb0                             // 000000002A64: C0021080 000000B0
	s_load_dword s67, s[0:1], 0xc0                             // 000000002A6C: C00210C0 000000C0
	s_load_dword s68, s[0:1], 0xd0                             // 000000002A74: C0021100 000000D0
	s_load_dword s69, s[0:1], 0xe0                             // 000000002A7C: C0021140 000000E0
	s_load_dword s71, s[0:1], 0xf0                             // 000000002A84: C00211C0 000000F0
	s_load_dword s72, s[0:1], 0x100                            // 000000002A8C: C0021200 00000100
	s_load_dword s74, s[0:1], 0x110                            // 000000002A94: C0021280 00000110
	s_load_dword s76, s[0:1], 0x120                            // 000000002A9C: C0021300 00000120
	s_load_dword s56, s[0:1], 0x130                            // 000000002AA4: C0020E00 00000130
	s_load_dword s88, s[0:1], 0x140                            // 000000002AAC: C0021600 00000140
	s_load_dword s89, s[0:1], 0x150                            // 000000002AB4: C0021640 00000150
	v_lshrrev_b32_e32 v1, 10, v0                               // 000000002ABC: 2002008A
	v_lshrrev_b32_e32 v2, 10, v1                               // 000000002AC0: 2004028A
	v_and_b32_e32 v2, 0x3ff, v2                                // 000000002AC4: 260404FF 000003FF
	v_and_b32_e32 v1, 0x3ff, v1                                // 000000002ACC: 260202FF 000003FF
	v_and_b32_e32 v0, 0x3ff, v0                                // 000000002AD4: 260000FF 000003FF
	v_lshrrev_b32_e32 v3, 6, v0                                // 000000002ADC: 20060086
	v_and_b32_e32 v0, 63, v0                                   // 000000002AE0: 260000BF
	s_mov_b32 s2, s2                                           // 000000002AE4: BE820002
	s_mov_b32 s3, s3                                           // 000000002AE8: BE830003
	s_mov_b32 s4, s4                                           // 000000002AEC: BE840004
	v_readfirstlane_b32 s7, v3                                 // 000000002AF0: 7E0E0503
	s_waitcnt lgkmcnt(0)                                       // 000000002AF4: BF8CC07F
	s_and_b32 s49, s49, 0xffff                                 // 000000002AF8: 8631FF31 0000FFFF
	s_load_dword s48, s[48:49], 0x0                            // 000000002B00: C0020C18 00000000
	s_and_b32 s45, s45, 0xffff                                 // 000000002B08: 862DFF2D 0000FFFF
	s_and_b32 s9, s9, 0xffff                                   // 000000002B10: 8609FF09 0000FFFF
	s_mul_i32 s60, s66, s68                                    // 000000002B18: 923C4442
	s_mul_i32 s61, s66, 4                                      // 000000002B1C: 923D8442
	s_mov_b32 s22, s60                                         // 000000002B20: BE96003C
	s_mov_b32 s26, -16                                         // 000000002B24: BE9A00D0
	s_mov_b32 s30, s61                                         // 000000002B28: BE9E003D
	s_mov_b32 s14, 0x200                                       // 000000002B2C: BE8E00FF 00000200
	s_mov_b32 s38, -16                                         // 000000002B34: BEA600D0
	s_mov_b32 s10, -16                                         // 000000002B38: BE8A00D0
	s_mov_b32 s34, 0x200                                       // 000000002B3C: BEA200FF 00000200
	s_mov_b32 s23, 0x20000                                     // 000000002B44: BE9700FF 00020000
	s_mov_b32 s27, 0x20000                                     // 000000002B4C: BE9B00FF 00020000
	s_mov_b32 s31, 0x20000                                     // 000000002B54: BE9F00FF 00020000
	s_mov_b32 s35, 0x20000                                     // 000000002B5C: BEA300FF 00020000
	s_mov_b32 s15, 0x20000                                     // 000000002B64: BE8F00FF 00020000
	s_mov_b32 s39, 0x20000                                     // 000000002B6C: BEA700FF 00020000
	s_mov_b32 s11, 0x20000                                     // 000000002B74: BE8B00FF 00020000
	s_and_b32 s21, s21, 0xffff                                 // 000000002B7C: 8615FF15 0000FFFF
	s_and_b32 s25, s25, 0xffff                                 // 000000002B84: 8619FF19 0000FFFF
	s_and_b32 s29, s29, 0xffff                                 // 000000002B8C: 861DFF1D 0000FFFF
	s_and_b32 s33, s33, 0xffff                                 // 000000002B94: 8621FF21 0000FFFF
	s_and_b32 s13, s13, 0xffff                                 // 000000002B9C: 860DFF0D 0000FFFF
	s_and_b32 s37, s37, 0xffff                                 // 000000002BA4: 8625FF25 0000FFFF
	s_or_b32 s21, s21, 0x40000                                 // 000000002BAC: 8715FF15 00040000
	s_or_b32 s25, s25, 0x40000                                 // 000000002BB4: 8719FF19 00040000
	s_or_b32 s29, s29, 0x40000                                 // 000000002BBC: 871DFF1D 00040000
	s_or_b32 s33, s33, 0x40000                                 // 000000002BC4: 8721FF21 00040000
	s_or_b32 s13, s13, 0x40000                                 // 000000002BCC: 870DFF0D 00040000
	s_or_b32 s37, s37, 0x40000                                 // 000000002BD4: 8725FF25 00040000
	v_accvgpr_write_b32 a175, 0                                // 000000002BDC: D3D940AF 18000080
	v_mov_b32_e32 v207, 0                                      // 000000002BE4: 7F9E0280
	s_waitcnt lgkmcnt(0)                                       // 000000002BE8: BF8CC07F
	s_mul_i32 s60, s3, 0x80                                    // 000000002BEC: 923CFF03 00000080
	s_cmp_lt_i32 s60, s48                                      // 000000002BF4: BF04303C
	s_cbranch_scc0 label_3BEE                                  // 000000002BF8: BF843B6C
	s_mov_b32 s80, 0                                           // 000000002BFC: BED00080
	s_lshr_b32 s81, s64, s88                                   // 000000002C00: 8F515840
	s_mul_i32 s60, s3, 4                                       // 000000002C04: 923C8403
	s_add_u32 s44, s60, s44                                    // 000000002C08: 802C2C3C
	s_addc_u32 s45, 0, s45                                     // 000000002C0C: 822D2D80
	s_load_dword s5, s[44:45], 0x0                             // 000000002C10: C0020156 00000000
	s_mul_i32 s60, s3, 0x80                                    // 000000002C18: 923CFF03 00000080
	s_mul_i32 s60, 4, s60                                      // 000000002C20: 923C3C84
	s_add_u32 s12, s60, s12                                    // 000000002C24: 800C0C3C
	s_addc_u32 s13, 0, s13                                     // 000000002C28: 820D0D80
	v_and_b32_e32 v4, 15, v0                                   // 000000002C2C: 2608008F
	v_lshlrev_b32_e32 v4, 2, v4                                // 000000002C30: 24080882
	buffer_load_dword v30, v4, s[12:15], 0 offen               // 000000002C34: E0501000 80031E04
	v_add_u32_e32 v4, 64, v4                                   // 000000002C3C: 680808C0
	buffer_load_dword v31, v4, s[12:15], 0 offen               // 000000002C40: E0501000 80031F04
	v_add_u32_e32 v4, 64, v4                                   // 000000002C48: 680808C0
	buffer_load_dword v32, v4, s[12:15], 0 offen               // 000000002C4C: E0501000 80032004
	v_add_u32_e32 v4, 64, v4                                   // 000000002C54: 680808C0
	buffer_load_dword v33, v4, s[12:15], 0 offen               // 000000002C58: E0501000 80032104
	v_add_u32_e32 v4, 64, v4                                   // 000000002C60: 680808C0
	buffer_load_dword v34, v4, s[12:15], 0 offen               // 000000002C64: E0501000 80032204
	v_add_u32_e32 v4, 64, v4                                   // 000000002C6C: 680808C0
	buffer_load_dword v35, v4, s[12:15], 0 offen               // 000000002C70: E0501000 80032304
	v_add_u32_e32 v4, 64, v4                                   // 000000002C78: 680808C0
	buffer_load_dword v36, v4, s[12:15], 0 offen               // 000000002C7C: E0501000 80032404
	v_add_u32_e32 v4, 64, v4                                   // 000000002C84: 680808C0
	buffer_load_dword v37, v4, s[12:15], 0 offen               // 000000002C88: E0501000 80032504
	v_add_u32_e32 v4, 64, v4                                   // 000000002C90: 680808C0
	s_mul_i32 s60, 4, s7                                       // 000000002C94: 923C0784
	v_lshlrev_b32_e32 v4, 4, v0                                // 000000002C98: 24080084
	v_add_u32_e32 v4, s60, v4                                  // 000000002C9C: 6808083C
	buffer_load_dword v3, v4, s[12:15], 0 offen                // 000000002CA0: E0501000 80030304
	v_mov_b32_e32 v80, 0                                       // 000000002CA8: 7EA00280
	v_mov_b32_e32 v144, 0                                      // 000000002CAC: 7F200280
	v_mov_b32_e32 v81, 0                                       // 000000002CB0: 7EA20280
	v_mov_b32_e32 v145, 0                                      // 000000002CB4: 7F220280
	v_mov_b32_e32 v82, 0                                       // 000000002CB8: 7EA40280
	v_mov_b32_e32 v146, 0                                      // 000000002CBC: 7F240280
	v_mov_b32_e32 v83, 0                                       // 000000002CC0: 7EA60280
	v_mov_b32_e32 v147, 0                                      // 000000002CC4: 7F260280
	v_mov_b32_e32 v84, 0                                       // 000000002CC8: 7EA80280
	v_mov_b32_e32 v148, 0                                      // 000000002CCC: 7F280280
	v_mov_b32_e32 v85, 0                                       // 000000002CD0: 7EAA0280
	v_mov_b32_e32 v149, 0                                      // 000000002CD4: 7F2A0280
	v_mov_b32_e32 v86, 0                                       // 000000002CD8: 7EAC0280
	v_mov_b32_e32 v150, 0                                      // 000000002CDC: 7F2C0280
	v_mov_b32_e32 v87, 0                                       // 000000002CE0: 7EAE0280
	v_mov_b32_e32 v151, 0                                      // 000000002CE4: 7F2E0280
	v_mov_b32_e32 v88, 0                                       // 000000002CE8: 7EB00280
	v_mov_b32_e32 v152, 0                                      // 000000002CEC: 7F300280
	v_mov_b32_e32 v89, 0                                       // 000000002CF0: 7EB20280
	v_mov_b32_e32 v153, 0                                      // 000000002CF4: 7F320280
	v_mov_b32_e32 v90, 0                                       // 000000002CF8: 7EB40280
	v_mov_b32_e32 v154, 0                                      // 000000002CFC: 7F340280
	v_mov_b32_e32 v91, 0                                       // 000000002D00: 7EB60280
	v_mov_b32_e32 v155, 0                                      // 000000002D04: 7F360280
	v_mov_b32_e32 v92, 0                                       // 000000002D08: 7EB80280
	v_mov_b32_e32 v156, 0                                      // 000000002D0C: 7F380280
	v_mov_b32_e32 v93, 0                                       // 000000002D10: 7EBA0280
	v_mov_b32_e32 v157, 0                                      // 000000002D14: 7F3A0280
	v_mov_b32_e32 v94, 0                                       // 000000002D18: 7EBC0280
	v_mov_b32_e32 v158, 0                                      // 000000002D1C: 7F3C0280
	v_mov_b32_e32 v95, 0                                       // 000000002D20: 7EBE0280
	v_mov_b32_e32 v159, 0                                      // 000000002D24: 7F3E0280
	v_mov_b32_e32 v96, 0                                       // 000000002D28: 7EC00280
	v_mov_b32_e32 v160, 0                                      // 000000002D2C: 7F400280
	v_mov_b32_e32 v97, 0                                       // 000000002D30: 7EC20280
	v_mov_b32_e32 v161, 0                                      // 000000002D34: 7F420280
	v_mov_b32_e32 v98, 0                                       // 000000002D38: 7EC40280
	v_mov_b32_e32 v162, 0                                      // 000000002D3C: 7F440280
	v_mov_b32_e32 v99, 0                                       // 000000002D40: 7EC60280
	v_mov_b32_e32 v163, 0                                      // 000000002D44: 7F460280
	v_mov_b32_e32 v100, 0                                      // 000000002D48: 7EC80280
	v_mov_b32_e32 v164, 0                                      // 000000002D4C: 7F480280
	v_mov_b32_e32 v101, 0                                      // 000000002D50: 7ECA0280
	v_mov_b32_e32 v165, 0                                      // 000000002D54: 7F4A0280
	v_mov_b32_e32 v102, 0                                      // 000000002D58: 7ECC0280
	v_mov_b32_e32 v166, 0                                      // 000000002D5C: 7F4C0280
	v_mov_b32_e32 v103, 0                                      // 000000002D60: 7ECE0280
	v_mov_b32_e32 v167, 0                                      // 000000002D64: 7F4E0280
	v_mov_b32_e32 v104, 0                                      // 000000002D68: 7ED00280
	v_mov_b32_e32 v168, 0                                      // 000000002D6C: 7F500280
	v_mov_b32_e32 v105, 0                                      // 000000002D70: 7ED20280
	v_mov_b32_e32 v169, 0                                      // 000000002D74: 7F520280
	v_mov_b32_e32 v106, 0                                      // 000000002D78: 7ED40280
	v_mov_b32_e32 v170, 0                                      // 000000002D7C: 7F540280
	v_mov_b32_e32 v107, 0                                      // 000000002D80: 7ED60280
	v_mov_b32_e32 v171, 0                                      // 000000002D84: 7F560280
	v_mov_b32_e32 v108, 0                                      // 000000002D88: 7ED80280
	v_mov_b32_e32 v172, 0                                      // 000000002D8C: 7F580280
	v_mov_b32_e32 v109, 0                                      // 000000002D90: 7EDA0280
	v_mov_b32_e32 v173, 0                                      // 000000002D94: 7F5A0280
	v_mov_b32_e32 v110, 0                                      // 000000002D98: 7EDC0280
	v_mov_b32_e32 v174, 0                                      // 000000002D9C: 7F5C0280
	v_mov_b32_e32 v111, 0                                      // 000000002DA0: 7EDE0280
	v_mov_b32_e32 v175, 0                                      // 000000002DA4: 7F5E0280
	v_mov_b32_e32 v112, 0                                      // 000000002DA8: 7EE00280
	v_mov_b32_e32 v176, 0                                      // 000000002DAC: 7F600280
	v_mov_b32_e32 v113, 0                                      // 000000002DB0: 7EE20280
	v_mov_b32_e32 v177, 0                                      // 000000002DB4: 7F620280
	v_mov_b32_e32 v114, 0                                      // 000000002DB8: 7EE40280
	v_mov_b32_e32 v178, 0                                      // 000000002DBC: 7F640280
	v_mov_b32_e32 v115, 0                                      // 000000002DC0: 7EE60280
	v_mov_b32_e32 v179, 0                                      // 000000002DC4: 7F660280
	v_mov_b32_e32 v116, 0                                      // 000000002DC8: 7EE80280
	v_mov_b32_e32 v180, 0                                      // 000000002DCC: 7F680280
	v_mov_b32_e32 v117, 0                                      // 000000002DD0: 7EEA0280
	v_mov_b32_e32 v181, 0                                      // 000000002DD4: 7F6A0280
	v_mov_b32_e32 v118, 0                                      // 000000002DD8: 7EEC0280
	v_mov_b32_e32 v182, 0                                      // 000000002DDC: 7F6C0280
	v_mov_b32_e32 v119, 0                                      // 000000002DE0: 7EEE0280
	v_mov_b32_e32 v183, 0                                      // 000000002DE4: 7F6E0280
	v_mov_b32_e32 v120, 0                                      // 000000002DE8: 7EF00280
	v_mov_b32_e32 v184, 0                                      // 000000002DEC: 7F700280
	v_mov_b32_e32 v121, 0                                      // 000000002DF0: 7EF20280
	v_mov_b32_e32 v185, 0                                      // 000000002DF4: 7F720280
	v_mov_b32_e32 v122, 0                                      // 000000002DF8: 7EF40280
	v_mov_b32_e32 v186, 0                                      // 000000002DFC: 7F740280
	v_mov_b32_e32 v123, 0                                      // 000000002E00: 7EF60280
	v_mov_b32_e32 v187, 0                                      // 000000002E04: 7F760280
	v_mov_b32_e32 v124, 0                                      // 000000002E08: 7EF80280
	v_mov_b32_e32 v188, 0                                      // 000000002E0C: 7F780280
	v_mov_b32_e32 v125, 0                                      // 000000002E10: 7EFA0280
	v_mov_b32_e32 v189, 0                                      // 000000002E14: 7F7A0280
	v_mov_b32_e32 v126, 0                                      // 000000002E18: 7EFC0280
	v_mov_b32_e32 v190, 0                                      // 000000002E1C: 7F7C0280
	v_mov_b32_e32 v127, 0                                      // 000000002E20: 7EFE0280
	v_mov_b32_e32 v191, 0                                      // 000000002E24: 7F7E0280
	v_mov_b32_e32 v128, 0                                      // 000000002E28: 7F000280
	v_mov_b32_e32 v192, 0                                      // 000000002E2C: 7F800280
	v_mov_b32_e32 v129, 0                                      // 000000002E30: 7F020280
	v_mov_b32_e32 v193, 0                                      // 000000002E34: 7F820280
	v_mov_b32_e32 v130, 0                                      // 000000002E38: 7F040280
	v_mov_b32_e32 v194, 0                                      // 000000002E3C: 7F840280
	v_mov_b32_e32 v131, 0                                      // 000000002E40: 7F060280
	v_mov_b32_e32 v195, 0                                      // 000000002E44: 7F860280
	v_mov_b32_e32 v132, 0                                      // 000000002E48: 7F080280
	v_mov_b32_e32 v196, 0                                      // 000000002E4C: 7F880280
	v_mov_b32_e32 v133, 0                                      // 000000002E50: 7F0A0280
	v_mov_b32_e32 v197, 0                                      // 000000002E54: 7F8A0280
	v_mov_b32_e32 v134, 0                                      // 000000002E58: 7F0C0280
	v_mov_b32_e32 v198, 0                                      // 000000002E5C: 7F8C0280
	v_mov_b32_e32 v135, 0                                      // 000000002E60: 7F0E0280
	v_mov_b32_e32 v199, 0                                      // 000000002E64: 7F8E0280
	v_mov_b32_e32 v136, 0                                      // 000000002E68: 7F100280
	v_mov_b32_e32 v200, 0                                      // 000000002E6C: 7F900280
	v_mov_b32_e32 v137, 0                                      // 000000002E70: 7F120280
	v_mov_b32_e32 v201, 0                                      // 000000002E74: 7F920280
	v_mov_b32_e32 v138, 0                                      // 000000002E78: 7F140280
	v_mov_b32_e32 v202, 0                                      // 000000002E7C: 7F940280
	v_mov_b32_e32 v139, 0                                      // 000000002E80: 7F160280
	v_mov_b32_e32 v203, 0                                      // 000000002E84: 7F960280
	v_mov_b32_e32 v140, 0                                      // 000000002E88: 7F180280
	v_mov_b32_e32 v204, 0                                      // 000000002E8C: 7F980280
	v_mov_b32_e32 v141, 0                                      // 000000002E90: 7F1A0280
	v_mov_b32_e32 v205, 0                                      // 000000002E94: 7F9A0280
	v_mov_b32_e32 v142, 0                                      // 000000002E98: 7F1C0280
	v_mov_b32_e32 v206, 0                                      // 000000002E9C: 7F9C0280
	v_mov_b32_e32 v143, 0                                      // 000000002EA0: 7F1E0280
	v_mov_b32_e32 v207, 0                                      // 000000002EA4: 7F9E0280
	s_mul_i32 s60, s2, 0x100                                   // 000000002EA8: 923CFF02 00000100
	s_cmp_eq_u32 s88, 0                                        // 000000002EB0: BF068058
	s_cselect_b32 s61, 1, 2                                    // 000000002EB4: 853D8281
	s_mul_i32 s60, s60, s61                                    // 000000002EB8: 923C3D3C
	s_mov_b32 s90, s8                                          // 000000002EBC: BEDA0008
	s_mov_b32 s91, s9                                          // 000000002EC0: BEDB0009
	s_add_u32 s8, s60, s8                                      // 000000002EC4: 8008083C
	s_addc_u32 s9, 0, s9                                       // 000000002EC8: 82090980
	v_lshrrev_b32_e32 v4, 4, v0                                // 000000002ECC: 20080084
	v_mul_lo_u32 v20, 34, v4                                   // 000000002ED0: D2850014 000208A2
	v_and_b32_e32 v4, 15, v0                                   // 000000002ED8: 2608008F
	v_mul_lo_u32 v5, 2, v4                                     // 000000002EDC: D2850005 00020882
	v_add_u32_e32 v20, v5, v20                                 // 000000002EE4: 68282905
	s_mul_i32 s60, s7, 0x88                                    // 000000002EE8: 923CFF07 00000088
	v_add_u32_e32 v20, s60, v20                                // 000000002EF0: 6828283C
	v_lshlrev_b32_e32 v20, 2, v20                              // 000000002EF4: 24282882
	v_and_b32_e32 v4, 31, v0                                   // 000000002EF8: 2608009F
	v_lshrrev_b32_e32 v4, 1, v4                                // 000000002EFC: 20080881
	v_mul_lo_u32 v21, 34, v4                                   // 000000002F00: D2850015 000208A2
	v_lshrrev_b32_e32 v4, 5, v0                                // 000000002F08: 20080085
	v_mul_lo_u32 v4, 8, v4                                     // 000000002F0C: D2850004 00020888
	v_add_u32_e32 v21, v21, v4                                 // 000000002F14: 682A0915
	v_and_b32_e32 v5, 1, v0                                    // 000000002F18: 260A0081
	v_add_u32_e32 v21, v5, v21                                 // 000000002F1C: 682A2B05
	s_mul_i32 s60, s7, 2                                       // 000000002F20: 923C8207
	v_add_u32_e32 v21, s60, v21                                // 000000002F24: 682A2A3C
	v_lshlrev_b32_e32 v21, 2, v21                              // 000000002F28: 242A2A82
	s_mul_i32 s60, s7, 0x1020                                  // 000000002F2C: 923CFF07 00001020
	s_add_u32 s48, 0, s60                                      // 000000002F34: 80303C80
	s_add_u32 s49, 0x4080, s48                                 // 000000002F38: 803130FF 00004080
	s_add_u32 s50, 0x4080, s49                                 // 000000002F40: 803231FF 00004080
	v_lshrrev_b32_e32 v4, 4, v0                                // 000000002F48: 20080084
	v_lshlrev_b32_e32 v5, 2, v4                                // 000000002F4C: 240A0882
	v_and_b32_e32 v4, 15, v0                                   // 000000002F50: 2608008F
	v_lshrrev_b32_e32 v6, 2, v4                                // 000000002F54: 200C0882
	v_lshlrev_b32_e32 v6, 5, v6                                // 000000002F58: 240C0C85
	v_add_u32_e32 v5, v6, v5                                   // 000000002F5C: 680A0B06
	v_and_b32_e32 v4, 3, v0                                    // 000000002F60: 26080083
	v_mul_u32_u24_e32 v6, 0x408, v4                            // 000000002F64: 100C08FF 00000408
	v_add_u32_e32 v5, v6, v5                                   // 000000002F6C: 680A0B06
	v_lshlrev_b32_e32 v2, 2, v5                                // 000000002F70: 24040A82
	s_waitcnt lgkmcnt(0)                                       // 000000002F74: BF8CC07F
	s_mul_i32 s60, s2, 0x80                                    // 000000002F78: 923CFF02 00000080
	s_mul_i32 s60, s60, s69                                    // 000000002F80: 923C453C
	s_mul_i32 s61, s5, s72                                     // 000000002F84: 923D4805
	s_add_u32 s60, s61, s60                                    // 000000002F88: 803C3C3D
	s_add_u32 s24, s60, s24                                    // 000000002F8C: 8018183C
	s_addc_u32 s25, 0, s25                                     // 000000002F90: 82191980
	s_lshr_b32 s60, s64, s88                                   // 000000002F94: 8F3C5840
	s_mul_i32 s60, s4, s60                                     // 000000002F98: 923C3C04
	s_lshr_b32 s60, s60, 7                                     // 000000002F9C: 8F3C873C
	s_mul_i32 s60, s60, 0x800                                  // 000000002FA0: 923CFF3C 00000800
	s_add_u32 s24, s60, s24                                    // 000000002FA8: 8018183C
	s_addc_u32 s25, 0, s25                                     // 000000002FAC: 82191980
	s_lshr_b32 s60, s69, s88                                   // 000000002FB0: 8F3C5845
	s_mul_i32 s60, s4, s60                                     // 000000002FB4: 923C3C04
	s_add_u32 s20, s60, s20                                    // 000000002FB8: 8014143C
	s_addc_u32 s21, 0, s21                                     // 000000002FBC: 82151580
	s_mul_i32 s60, s7, 16                                      // 000000002FC0: 923C9007
	s_mul_i32 s60, s60, s69                                    // 000000002FC4: 923C453C
	v_lshlrev_b32_e32 v78, 4, v0                               // 000000002FC8: 249C0084
	v_add_u32_e32 v78, s60, v78                                // 000000002FCC: 689C9C3C
	s_mul_i32 s60, 64, s69                                     // 000000002FD0: 923C45C0
	v_add_u32_e32 v79, s60, v78                                // 000000002FD4: 689E9C3C
	s_mov_b32 s84, s24                                         // 000000002FD8: BED40018
	s_mov_b32 s85, s25                                         // 000000002FDC: BED50019
	s_mov_b32 s86, s26                                         // 000000002FE0: BED6001A
	s_mov_b32 s87, s27                                         // 000000002FE4: BED7001B
	s_mul_i32 s60, s69, s65                                    // 000000002FE8: 923C4145
	s_add_u32 s84, s60, s84                                    // 000000002FEC: 8054543C
	s_addc_u32 s85, 0, s85                                     // 000000002FF0: 82555580
	v_lshrrev_b32_e32 v4, 4, v0                                // 000000002FF4: 20080084
	v_lshlrev_b32_e32 v5, 2, v4                                // 000000002FF8: 240A0882
	v_and_b32_e32 v4, 15, v0                                   // 000000002FFC: 2608008F
	v_lshrrev_b32_e32 v6, 2, v4                                // 000000003000: 200C0882
	v_lshlrev_b32_e32 v6, 6, v6                                // 000000003004: 240C0C86
	v_add_u32_e32 v5, v6, v5                                   // 000000003008: 680A0B06
	v_and_b32_e32 v4, 3, v0                                    // 00000000300C: 26080083
	v_add_u32_e32 v5, v4, v5                                   // 000000003010: 680A0B04
	v_lshlrev_b32_e32 v22, 2, v5                               // 000000003014: 242C0A82
	s_mul_i32 s60, s7, 16                                      // 000000003018: 923C9007
	s_mul_i32 s60, s60, 4                                      // 00000000301C: 923C843C
	v_add_u32_e32 v22, s60, v22                                // 000000003020: 682C2C3C
	s_mul_i32 s60, s2, 0x80                                    // 000000003024: 923CFF02 00000080
	s_mul_i32 s60, s60, 4                                      // 00000000302C: 923C843C
	s_mul_i32 s61, s5, s74                                     // 000000003030: 923D4A05
	s_add_u32 s61, s61, s60                                    // 000000003034: 803D3C3D
	s_add_u32 s32, s61, s32                                    // 000000003038: 8020203D
	s_addc_u32 s33, 0, s33                                     // 00000000303C: 82212180
	s_mov_b32 s57, 0x80                                        // 000000003040: BEB900FF 00000080
	s_mov_b32 s58, 0x800                                       // 000000003048: BEBA00FF 00000800
	s_mov_b32 s83, s58                                         // 000000003050: BED3003A
	s_mov_b32 s52, 0x7060302                                   // 000000003054: BEB400FF 07060302
	s_mov_b32 s53, 0x400                                       // 00000000305C: BEB500FF 00000400
	s_mov_b32 s54, 0x40100                                     // 000000003064: BEB600FF 00040100
	s_mov_b32 s55, 0x4020100                                   // 00000000306C: BEB700FF 04020100
	s_mov_b32 s6, 0x3fb8aa3b                                   // 000000003074: BE8600FF 3FB8AA3B
	s_mov_b32 s78, 0xbd92220c                                  // 00000000307C: BECE00FF BD92220C
	s_mov_b32 s79, 0xbd92220c                                  // 000000003084: BECF00FF BD92220C
	s_mov_b32 m0, s48                                          // 00000000308C: BEFC0030
	v_mov_b32_e32 v1, 0xbfcc4231                               // 000000003090: 7E0202FF BFCC4231
	v_mov_b32_e32 v17, 0xffff0000                              // 000000003098: 7E2202FF FFFF0000
	v_mov_b32_e32 v18, 0x7fff0000                              // 0000000030A0: 7E2402FF 7FFF0000
	v_mov_b32_e32 v19, 0x7fff                                  // 0000000030A8: 7E2602FF 00007FFF
	s_waitcnt vmcnt(0) expcnt(0) lgkmcnt(0)                    // 0000000030B0: BF8C0000
	v_lshrrev_b32_e32 v4, 5, v0                                // 0000000030B4: 20080085
	v_xor_b32_e32 v5, 1, v4                                    // 0000000030B8: 2A0A0881
	v_readlane_b32 s82, v3, 0                                  // 0000000030BC: D2890052 00010103
	s_and_b32 s82, s82, 0xffffff                               // 0000000030C4: 8652FF52 00FFFFFF
	v_mul_lo_u32 v6, v5, s82                                   // 0000000030CC: D2850006 0000A505
	v_readlane_b32 s82, v3, 1                                  // 0000000030D4: D2890052 00010303
	s_and_b32 s82, s82, 0xffffff                               // 0000000030DC: 8652FF52 00FFFFFF
	v_mul_lo_u32 v7, v4, s82                                   // 0000000030E4: D2850007 0000A504
	v_add_u32_e32 v62, v6, v7                                  // 0000000030EC: 687C0F06
	v_mul_lo_u32 v62, v62, s68                                 // 0000000030F0: D285003E 0000893E
	v_readlane_b32 s82, v3, 2                                  // 0000000030F8: D2890052 00010503
	s_and_b32 s82, s82, 0xffffff                               // 000000003100: 8652FF52 00FFFFFF
	v_mul_lo_u32 v6, v5, s82                                   // 000000003108: D2850006 0000A505
	v_readlane_b32 s82, v3, 3                                  // 000000003110: D2890052 00010703
	s_and_b32 s82, s82, 0xffffff                               // 000000003118: 8652FF52 00FFFFFF
	v_mul_lo_u32 v7, v4, s82                                   // 000000003120: D2850007 0000A504
	v_add_u32_e32 v63, v6, v7                                  // 000000003128: 687E0F06
	v_mul_lo_u32 v63, v63, s68                                 // 00000000312C: D285003F 0000893F
	v_readlane_b32 s82, v3, 4                                  // 000000003134: D2890052 00010903
	s_and_b32 s82, s82, 0xffffff                               // 00000000313C: 8652FF52 00FFFFFF
	v_mul_lo_u32 v6, v5, s82                                   // 000000003144: D2850006 0000A505
	v_readlane_b32 s82, v3, 5                                  // 00000000314C: D2890052 00010B03
	s_and_b32 s82, s82, 0xffffff                               // 000000003154: 8652FF52 00FFFFFF
	v_mul_lo_u32 v7, v4, s82                                   // 00000000315C: D2850007 0000A504
	v_add_u32_e32 v64, v6, v7                                  // 000000003164: 68800F06
	v_mul_lo_u32 v64, v64, s68                                 // 000000003168: D2850040 00008940
	v_readlane_b32 s82, v3, 6                                  // 000000003170: D2890052 00010D03
	s_and_b32 s82, s82, 0xffffff                               // 000000003178: 8652FF52 00FFFFFF
	v_mul_lo_u32 v6, v5, s82                                   // 000000003180: D2850006 0000A505
	v_readlane_b32 s82, v3, 7                                  // 000000003188: D2890052 00010F03
	s_and_b32 s82, s82, 0xffffff                               // 000000003190: 8652FF52 00FFFFFF
	v_mul_lo_u32 v7, v4, s82                                   // 000000003198: D2850007 0000A504
	v_add_u32_e32 v65, v6, v7                                  // 0000000031A0: 68820F06
	v_mul_lo_u32 v65, v65, s68                                 // 0000000031A4: D2850041 00008941
	v_readlane_b32 s82, v3, 8                                  // 0000000031AC: D2890052 00011103
	s_and_b32 s82, s82, 0xffffff                               // 0000000031B4: 8652FF52 00FFFFFF
	v_mul_lo_u32 v6, v5, s82                                   // 0000000031BC: D2850006 0000A505
	v_readlane_b32 s82, v3, 9                                  // 0000000031C4: D2890052 00011303
	s_and_b32 s82, s82, 0xffffff                               // 0000000031CC: 8652FF52 00FFFFFF
	v_mul_lo_u32 v7, v4, s82                                   // 0000000031D4: D2850007 0000A504
	v_add_u32_e32 v66, v6, v7                                  // 0000000031DC: 68840F06
	v_mul_lo_u32 v66, v66, s68                                 // 0000000031E0: D2850042 00008942
	v_readlane_b32 s82, v3, 10                                 // 0000000031E8: D2890052 00011503
	s_and_b32 s82, s82, 0xffffff                               // 0000000031F0: 8652FF52 00FFFFFF
	v_mul_lo_u32 v6, v5, s82                                   // 0000000031F8: D2850006 0000A505
	v_readlane_b32 s82, v3, 11                                 // 000000003200: D2890052 00011703
	s_and_b32 s82, s82, 0xffffff                               // 000000003208: 8652FF52 00FFFFFF
	v_mul_lo_u32 v7, v4, s82                                   // 000000003210: D2850007 0000A504
	v_add_u32_e32 v67, v6, v7                                  // 000000003218: 68860F06
	v_mul_lo_u32 v67, v67, s68                                 // 00000000321C: D2850043 00008943
	v_readlane_b32 s82, v3, 12                                 // 000000003224: D2890052 00011903
	s_and_b32 s82, s82, 0xffffff                               // 00000000322C: 8652FF52 00FFFFFF
	v_mul_lo_u32 v6, v5, s82                                   // 000000003234: D2850006 0000A505
	v_readlane_b32 s82, v3, 13                                 // 00000000323C: D2890052 00011B03
	s_and_b32 s82, s82, 0xffffff                               // 000000003244: 8652FF52 00FFFFFF
	v_mul_lo_u32 v7, v4, s82                                   // 00000000324C: D2850007 0000A504
	v_add_u32_e32 v68, v6, v7                                  // 000000003254: 68880F06
	v_mul_lo_u32 v68, v68, s68                                 // 000000003258: D2850044 00008944
	v_readlane_b32 s82, v3, 14                                 // 000000003260: D2890052 00011D03
	s_and_b32 s82, s82, 0xffffff                               // 000000003268: 8652FF52 00FFFFFF
	v_mul_lo_u32 v6, v5, s82                                   // 000000003270: D2850006 0000A505
	v_readlane_b32 s82, v3, 15                                 // 000000003278: D2890052 00011F03
	s_and_b32 s82, s82, 0xffffff                               // 000000003280: 8652FF52 00FFFFFF
	v_mul_lo_u32 v7, v4, s82                                   // 000000003288: D2850007 0000A504
	v_add_u32_e32 v69, v6, v7                                  // 000000003290: 688A0F06
	v_mul_lo_u32 v69, v69, s68                                 // 000000003294: D2850045 00008945
	v_readlane_b32 s82, v3, 16                                 // 00000000329C: D2890052 00012103
	s_and_b32 s82, s82, 0xffffff                               // 0000000032A4: 8652FF52 00FFFFFF
	v_mul_lo_u32 v6, v5, s82                                   // 0000000032AC: D2850006 0000A505
	v_readlane_b32 s82, v3, 17                                 // 0000000032B4: D2890052 00012303
	s_and_b32 s82, s82, 0xffffff                               // 0000000032BC: 8652FF52 00FFFFFF
	v_mul_lo_u32 v7, v4, s82                                   // 0000000032C4: D2850007 0000A504
	v_add_u32_e32 v70, v6, v7                                  // 0000000032CC: 688C0F06
	v_mul_lo_u32 v70, v70, s68                                 // 0000000032D0: D2850046 00008946
	v_readlane_b32 s82, v3, 18                                 // 0000000032D8: D2890052 00012503
	s_and_b32 s82, s82, 0xffffff                               // 0000000032E0: 8652FF52 00FFFFFF
	v_mul_lo_u32 v6, v5, s82                                   // 0000000032E8: D2850006 0000A505
	v_readlane_b32 s82, v3, 19                                 // 0000000032F0: D2890052 00012703
	s_and_b32 s82, s82, 0xffffff                               // 0000000032F8: 8652FF52 00FFFFFF
	v_mul_lo_u32 v7, v4, s82                                   // 000000003300: D2850007 0000A504
	v_add_u32_e32 v71, v6, v7                                  // 000000003308: 688E0F06
	v_mul_lo_u32 v71, v71, s68                                 // 00000000330C: D2850047 00008947
	v_readlane_b32 s82, v3, 20                                 // 000000003314: D2890052 00012903
	s_and_b32 s82, s82, 0xffffff                               // 00000000331C: 8652FF52 00FFFFFF
	v_mul_lo_u32 v6, v5, s82                                   // 000000003324: D2850006 0000A505
	v_readlane_b32 s82, v3, 21                                 // 00000000332C: D2890052 00012B03
	s_and_b32 s82, s82, 0xffffff                               // 000000003334: 8652FF52 00FFFFFF
	v_mul_lo_u32 v7, v4, s82                                   // 00000000333C: D2850007 0000A504
	v_add_u32_e32 v72, v6, v7                                  // 000000003344: 68900F06
	v_mul_lo_u32 v72, v72, s68                                 // 000000003348: D2850048 00008948
	v_readlane_b32 s82, v3, 22                                 // 000000003350: D2890052 00012D03
	s_and_b32 s82, s82, 0xffffff                               // 000000003358: 8652FF52 00FFFFFF
	v_mul_lo_u32 v6, v5, s82                                   // 000000003360: D2850006 0000A505
	v_readlane_b32 s82, v3, 23                                 // 000000003368: D2890052 00012F03
	s_and_b32 s82, s82, 0xffffff                               // 000000003370: 8652FF52 00FFFFFF
	v_mul_lo_u32 v7, v4, s82                                   // 000000003378: D2850007 0000A504
	v_add_u32_e32 v73, v6, v7                                  // 000000003380: 68920F06
	v_mul_lo_u32 v73, v73, s68                                 // 000000003384: D2850049 00008949
	v_readlane_b32 s82, v3, 24                                 // 00000000338C: D2890052 00013103
	s_and_b32 s82, s82, 0xffffff                               // 000000003394: 8652FF52 00FFFFFF
	v_mul_lo_u32 v6, v5, s82                                   // 00000000339C: D2850006 0000A505
	v_readlane_b32 s82, v3, 25                                 // 0000000033A4: D2890052 00013303
	s_and_b32 s82, s82, 0xffffff                               // 0000000033AC: 8652FF52 00FFFFFF
	v_mul_lo_u32 v7, v4, s82                                   // 0000000033B4: D2850007 0000A504
	v_add_u32_e32 v74, v6, v7                                  // 0000000033BC: 68940F06
	v_mul_lo_u32 v74, v74, s68                                 // 0000000033C0: D285004A 0000894A
	v_readlane_b32 s82, v3, 26                                 // 0000000033C8: D2890052 00013503
	s_and_b32 s82, s82, 0xffffff                               // 0000000033D0: 8652FF52 00FFFFFF
	v_mul_lo_u32 v6, v5, s82                                   // 0000000033D8: D2850006 0000A505
	v_readlane_b32 s82, v3, 27                                 // 0000000033E0: D2890052 00013703
	s_and_b32 s82, s82, 0xffffff                               // 0000000033E8: 8652FF52 00FFFFFF
	v_mul_lo_u32 v7, v4, s82                                   // 0000000033F0: D2850007 0000A504
	v_add_u32_e32 v75, v6, v7                                  // 0000000033F8: 68960F06
	v_mul_lo_u32 v75, v75, s68                                 // 0000000033FC: D285004B 0000894B
	v_readlane_b32 s82, v3, 28                                 // 000000003404: D2890052 00013903
	s_and_b32 s82, s82, 0xffffff                               // 00000000340C: 8652FF52 00FFFFFF
	v_mul_lo_u32 v6, v5, s82                                   // 000000003414: D2850006 0000A505
	v_readlane_b32 s82, v3, 29                                 // 00000000341C: D2890052 00013B03
	s_and_b32 s82, s82, 0xffffff                               // 000000003424: 8652FF52 00FFFFFF
	v_mul_lo_u32 v7, v4, s82                                   // 00000000342C: D2850007 0000A504
	v_add_u32_e32 v76, v6, v7                                  // 000000003434: 68980F06
	v_mul_lo_u32 v76, v76, s68                                 // 000000003438: D285004C 0000894C
	v_readlane_b32 s82, v3, 30                                 // 000000003440: D2890052 00013D03
	s_and_b32 s82, s82, 0xffffff                               // 000000003448: 8652FF52 00FFFFFF
	v_mul_lo_u32 v6, v5, s82                                   // 000000003450: D2850006 0000A505
	v_readlane_b32 s82, v3, 31                                 // 000000003458: D2890052 00013F03
	s_and_b32 s82, s82, 0xffffff                               // 000000003460: 8652FF52 00FFFFFF
	v_mul_lo_u32 v7, v4, s82                                   // 000000003468: D2850007 0000A504
	v_add_u32_e32 v77, v6, v7                                  // 000000003470: 689A0F06
	v_mul_lo_u32 v77, v77, s68                                 // 000000003474: D285004D 0000894D
	v_and_b32_e32 v4, 31, v0                                   // 00000000347C: 2608009F
	v_lshlrev_b32_e32 v4, 2, v4                                // 000000003480: 24080882
	v_add_u32_e32 v62, v62, v4                                 // 000000003484: 687C093E
	v_add_u32_e32 v63, v63, v4                                 // 000000003488: 687E093F
	v_add_u32_e32 v64, v64, v4                                 // 00000000348C: 68800940
	v_add_u32_e32 v65, v65, v4                                 // 000000003490: 68820941
	v_add_u32_e32 v66, v66, v4                                 // 000000003494: 68840942
	;; [unrolled: 1-line block ×3, first 2 shown]
	v_add_u32_e32 v68, v68, v4                                 // 00000000349C: 68880944
	v_add_u32_e32 v69, v69, v4                                 // 0000000034A0: 688A0945
	v_add_u32_e32 v70, v70, v4                                 // 0000000034A4: 688C0946
	v_add_u32_e32 v71, v71, v4                                 // 0000000034A8: 688E0947
	v_add_u32_e32 v72, v72, v4                                 // 0000000034AC: 68900948
	v_add_u32_e32 v73, v73, v4                                 // 0000000034B0: 68920949
	v_add_u32_e32 v74, v74, v4                                 // 0000000034B4: 6894094A
	v_add_u32_e32 v75, v75, v4                                 // 0000000034B8: 6896094B
	v_add_u32_e32 v76, v76, v4                                 // 0000000034BC: 6898094C
	v_add_u32_e32 v77, v77, v4                                 // 0000000034C0: 689A094D
	v_and_b32_e32 v30, 0xffffff, v30                           // 0000000034C4: 263C3CFF 00FFFFFF
	v_lshlrev_b32_e32 v30, 2, v30                              // 0000000034CC: 243C3C82
	v_and_b32_e32 v31, 0xffffff, v31                           // 0000000034D0: 263E3EFF 00FFFFFF
	v_lshlrev_b32_e32 v31, 2, v31                              // 0000000034D8: 243E3E82
	v_and_b32_e32 v32, 0xffffff, v32                           // 0000000034DC: 264040FF 00FFFFFF
	v_lshlrev_b32_e32 v32, 2, v32                              // 0000000034E4: 24404082
	v_and_b32_e32 v33, 0xffffff, v33                           // 0000000034E8: 264242FF 00FFFFFF
	v_lshlrev_b32_e32 v33, 2, v33                              // 0000000034F0: 24424282
	v_and_b32_e32 v34, 0xffffff, v34                           // 0000000034F4: 264444FF 00FFFFFF
	v_lshlrev_b32_e32 v34, 2, v34                              // 0000000034FC: 24444482
	v_and_b32_e32 v35, 0xffffff, v35                           // 000000003500: 264646FF 00FFFFFF
	v_lshlrev_b32_e32 v35, 2, v35                              // 000000003508: 24464682
	v_and_b32_e32 v36, 0xffffff, v36                           // 00000000350C: 264848FF 00FFFFFF
	v_lshlrev_b32_e32 v36, 2, v36                              // 000000003514: 24484882
	v_and_b32_e32 v37, 0xffffff, v37                           // 000000003518: 264A4AFF 00FFFFFF
	v_lshlrev_b32_e32 v37, 2, v37                              // 000000003520: 244A4A82
	s_lshl_b32 s3, s66, 2                                      // 000000003524: 8E038242
	buffer_load_dword v38, v30, s[28:31], 0 offen              // 000000003528: E0501000 8007261E
	buffer_load_dword v39, v31, s[28:31], 0 offen              // 000000003530: E0501000 8007271F
	buffer_load_dword v40, v32, s[28:31], 0 offen              // 000000003538: E0501000 80072820
	buffer_load_dword v41, v33, s[28:31], 0 offen              // 000000003540: E0501000 80072921
	buffer_load_dword v42, v34, s[28:31], 0 offen              // 000000003548: E0501000 80072A22
	buffer_load_dword v43, v35, s[28:31], 0 offen              // 000000003550: E0501000 80072B23
	buffer_load_dword v44, v36, s[28:31], 0 offen              // 000000003558: E0501000 80072C24
	buffer_load_dword v45, v37, s[28:31], 0 offen              // 000000003560: E0501000 80072D25
	buffer_load_dword v24, v22, s[32:35], 0 offen              // 000000003568: E0501000 80081816
	s_mul_i32 s60, 4, s65                                      // 000000003570: 923C4184
	s_add_u32 s32, s60, s32                                    // 000000003574: 8020203C
	s_addc_u32 s33, 0, s33                                     // 000000003578: 82212180
	buffer_load_dword v27, v22, s[32:35], 0 offen              // 00000000357C: E0501000 80081B16
	buffer_load_dword v62, s[20:23], 0 offen lds               // 000000003584: E0511000 8005003E
	s_add_u32 m0, 0x100, s48                                   // 00000000358C: 807C30FF 00000100
	buffer_load_dword v63, s[20:23], 0 offen lds               // 000000003594: E0511000 8005003F
	s_add_u32 m0, 0x200, s48                                   // 00000000359C: 807C30FF 00000200
	buffer_load_dword v64, s[20:23], 0 offen lds               // 0000000035A4: E0511000 80050040
	s_add_u32 m0, 0x300, s48                                   // 0000000035AC: 807C30FF 00000300
	buffer_load_dword v65, s[20:23], 0 offen lds               // 0000000035B4: E0511000 80050041
	s_add_u32 m0, 0x400, s48                                   // 0000000035BC: 807C30FF 00000400
	buffer_load_dword v66, s[20:23], 0 offen lds               // 0000000035C4: E0511000 80050042
	s_add_u32 m0, 0x500, s48                                   // 0000000035CC: 807C30FF 00000500
	buffer_load_dword v67, s[20:23], 0 offen lds               // 0000000035D4: E0511000 80050043
	s_add_u32 m0, 0x600, s48                                   // 0000000035DC: 807C30FF 00000600
	buffer_load_dword v68, s[20:23], 0 offen lds               // 0000000035E4: E0511000 80050044
	s_add_u32 m0, 0x700, s48                                   // 0000000035EC: 807C30FF 00000700
	buffer_load_dword v69, s[20:23], 0 offen lds               // 0000000035F4: E0511000 80050045
	s_add_u32 m0, 0x800, s48                                   // 0000000035FC: 807C30FF 00000800
	buffer_load_dword v70, s[20:23], 0 offen lds               // 000000003604: E0511000 80050046
	s_add_u32 m0, 0x900, s48                                   // 00000000360C: 807C30FF 00000900
	buffer_load_dword v71, s[20:23], 0 offen lds               // 000000003614: E0511000 80050047
	s_add_u32 m0, 0xa00, s48                                   // 00000000361C: 807C30FF 00000A00
	buffer_load_dword v72, s[20:23], 0 offen lds               // 000000003624: E0511000 80050048
	s_add_u32 m0, 0xb00, s48                                   // 00000000362C: 807C30FF 00000B00
	buffer_load_dword v73, s[20:23], 0 offen lds               // 000000003634: E0511000 80050049
	s_add_u32 m0, 0xc00, s48                                   // 00000000363C: 807C30FF 00000C00
	buffer_load_dword v74, s[20:23], 0 offen lds               // 000000003644: E0511000 8005004A
	s_add_u32 m0, 0xd00, s48                                   // 00000000364C: 807C30FF 00000D00
	buffer_load_dword v75, s[20:23], 0 offen lds               // 000000003654: E0511000 8005004B
	s_add_u32 m0, 0xe00, s48                                   // 00000000365C: 807C30FF 00000E00
	buffer_load_dword v76, s[20:23], 0 offen lds               // 000000003664: E0511000 8005004C
	s_add_u32 m0, 0xf00, s48                                   // 00000000366C: 807C30FF 00000F00
	buffer_load_dword v77, s[20:23], 0 offen lds               // 000000003674: E0511000 8005004D
	s_add_u32 m0, 0, s49                                       // 00000000367C: 807C3180
	s_add_u32 s20, s57, s20                                    // 000000003680: 80141439
	s_addc_u32 s21, 0, s21                                     // 000000003684: 82151580
	buffer_load_dwordx4 a[128:131], v78, s[24:27], 0 offen     // 000000003688: E05C1000 8086804E
	buffer_load_dwordx4 a[132:135], v78, s[24:27], 0 offen offset:1024// 000000003690: E05C1400 8086844E
	buffer_load_dwordx4 a[136:139], v79, s[24:27], 0 offen     // 000000003698: E05C1000 8086884F
	buffer_load_dwordx4 a[140:143], v79, s[24:27], 0 offen offset:1024// 0000000036A0: E05C1400 80868C4F
	s_add_u32 s24, s58, s24                                    // 0000000036A8: 8018183A
	s_addc_u32 s25, 0, s25                                     // 0000000036AC: 82191980
	buffer_load_dword v62, s[20:23], 0 offen lds               // 0000000036B0: E0511000 8005003E
	s_add_u32 m0, 0x100, s49                                   // 0000000036B8: 807C31FF 00000100
	buffer_load_dword v63, s[20:23], 0 offen lds               // 0000000036C0: E0511000 8005003F
	s_add_u32 m0, 0x200, s49                                   // 0000000036C8: 807C31FF 00000200
	buffer_load_dword v64, s[20:23], 0 offen lds               // 0000000036D0: E0511000 80050040
	s_add_u32 m0, 0x300, s49                                   // 0000000036D8: 807C31FF 00000300
	buffer_load_dword v65, s[20:23], 0 offen lds               // 0000000036E0: E0511000 80050041
	s_add_u32 m0, 0x400, s49                                   // 0000000036E8: 807C31FF 00000400
	buffer_load_dword v66, s[20:23], 0 offen lds               // 0000000036F0: E0511000 80050042
	s_add_u32 m0, 0x500, s49                                   // 0000000036F8: 807C31FF 00000500
	buffer_load_dword v67, s[20:23], 0 offen lds               // 000000003700: E0511000 80050043
	s_add_u32 m0, 0x600, s49                                   // 000000003708: 807C31FF 00000600
	buffer_load_dword v68, s[20:23], 0 offen lds               // 000000003710: E0511000 80050044
	s_add_u32 m0, 0x700, s49                                   // 000000003718: 807C31FF 00000700
	;; [unrolled: 2-line block ×4, first 2 shown]
	buffer_load_dword v71, s[20:23], 0 offen lds               // 000000003740: E0511000 80050047
	s_add_u32 m0, 0xa00, s49                                   // 000000003748: 807C31FF 00000A00
	buffer_load_dword v72, s[20:23], 0 offen lds               // 000000003750: E0511000 80050048
	s_add_u32 m0, 0xb00, s49                                   // 000000003758: 807C31FF 00000B00
	buffer_load_dword v73, s[20:23], 0 offen lds               // 000000003760: E0511000 80050049
	s_add_u32 m0, 0xc00, s49                                   // 000000003768: 807C31FF 00000C00
	buffer_load_dword v74, s[20:23], 0 offen lds               // 000000003770: E0511000 8005004A
	s_add_u32 m0, 0xd00, s49                                   // 000000003778: 807C31FF 00000D00
	buffer_load_dword v75, s[20:23], 0 offen lds               // 000000003780: E0511000 8005004B
	s_add_u32 m0, 0xe00, s49                                   // 000000003788: 807C31FF 00000E00
	buffer_load_dword v76, s[20:23], 0 offen lds               // 000000003790: E0511000 8005004C
	s_add_u32 m0, 0xf00, s49                                   // 000000003798: 807C31FF 00000F00
	buffer_load_dword v77, s[20:23], 0 offen lds               // 0000000037A0: E0511000 8005004D
	s_add_u32 m0, 0, s50                                       // 0000000037A8: 807C3280
	s_add_u32 s20, s57, s20                                    // 0000000037AC: 80141439
	s_addc_u32 s21, 0, s21                                     // 0000000037B0: 82151580
	buffer_load_dwordx4 a[144:147], v78, s[84:87], 0 offen     // 0000000037B4: E05C1000 8095904E
	buffer_load_dwordx4 a[148:151], v78, s[84:87], 0 offen offset:1024// 0000000037BC: E05C1400 8095944E
	buffer_load_dwordx4 a[152:155], v79, s[84:87], 0 offen     // 0000000037C4: E05C1000 8095984F
	buffer_load_dwordx4 a[156:159], v79, s[84:87], 0 offen offset:1024// 0000000037CC: E05C1400 80959C4F
	s_add_u32 s84, s83, s84                                    // 0000000037D4: 80545453
	s_addc_u32 s85, 0, s85                                     // 0000000037D8: 82555580
	s_waitcnt vmcnt(24)                                        // 0000000037DC: BF8C4F78
	s_barrier                                                  // 0000000037E0: BF8A0000
	ds_read_b128 a[0:3], v2                                    // 0000000037E4: DBFE0000 00000002
	ds_read_b128 a[4:7], v2 offset:64                          // 0000000037EC: DBFE0040 04000002
	ds_read_b128 a[8:11], v2 offset:512                        // 0000000037F4: DBFE0200 08000002
	ds_read_b128 a[12:15], v2 offset:576                       // 0000000037FC: DBFE0240 0C000002
	ds_read_b128 a[16:19], v2 offset:1024                      // 000000003804: DBFE0400 10000002
	ds_read_b128 a[20:23], v2 offset:1088                      // 00000000380C: DBFE0440 14000002
	ds_read_b128 a[24:27], v2 offset:1536                      // 000000003814: DBFE0600 18000002
	ds_read_b128 a[28:31], v2 offset:1600                      // 00000000381C: DBFE0640 1C000002
	ds_read_b128 a[32:35], v2 offset:2048                      // 000000003824: DBFE0800 20000002
	ds_read_b128 a[36:39], v2 offset:2112                      // 00000000382C: DBFE0840 24000002
	ds_read_b128 a[40:43], v2 offset:2560                      // 000000003834: DBFE0A00 28000002
	ds_read_b128 a[44:47], v2 offset:2624                      // 00000000383C: DBFE0A40 2C000002
	ds_read_b128 a[48:51], v2 offset:3072                      // 000000003844: DBFE0C00 30000002
	ds_read_b128 a[52:55], v2 offset:3136                      // 00000000384C: DBFE0C40 34000002
	ds_read_b128 a[56:59], v2 offset:3584                      // 000000003854: DBFE0E00 38000002
	ds_read_b128 a[60:63], v2 offset:3648                      // 00000000385C: DBFE0E40 3C000002
	s_cmp_lt_i32 s7, 2                                         // 000000003864: BF048207
	s_cbranch_scc0 label_1FC6                                  // 000000003868: BF841C28

000000000000386c <label_039B>:
	s_waitcnt vmcnt(20) lgkmcnt(0)                             // 00000000386C: BF8C4074
	v_mfma_f32_16x16x32_fp8_fp8 v[80:83], a[128:129], a[0:1], v[80:83]// 000000003870: D3F30050 1D420180
	v_mfma_f32_16x16x32_fp8_fp8 v[80:83], a[130:131], a[2:3], v[80:83]// 000000003878: D3F30050 1D420582
	buffer_load_dwordx4 a[160:163], v78, s[24:27], 0 offen     // 000000003880: E05C1000 8086A04E
	v_mfma_f32_16x16x32_fp8_fp8 v[80:83], a[132:133], a[4:5], v[80:83]// 000000003888: D3F30050 1D420984
	v_mfma_f32_16x16x32_fp8_fp8 v[80:83], a[134:135], a[6:7], v[80:83]// 000000003890: D3F30050 1D420D86
	v_mfma_f32_16x16x32_fp8_fp8 v[112:115], a[136:137], a[0:1], v[112:115]// 000000003898: D3F30070 1DC20188
	v_mfma_f32_16x16x32_fp8_fp8 v[112:115], a[138:139], a[2:3], v[112:115]// 0000000038A0: D3F30070 1DC2058A
	buffer_load_dwordx4 a[164:167], v78, s[24:27], 0 offen offset:1024// 0000000038A8: E05C1400 8086A44E
	v_mfma_f32_16x16x32_fp8_fp8 v[112:115], a[140:141], a[4:5], v[112:115]// 0000000038B0: D3F30070 1DC2098C
	v_mfma_f32_16x16x32_fp8_fp8 v[112:115], a[142:143], a[6:7], v[112:115]// 0000000038B8: D3F30070 1DC20D8E
	v_mfma_f32_16x16x32_fp8_fp8 v[84:87], a[128:129], a[8:9], v[84:87]// 0000000038C0: D3F30054 1D521180
	v_mfma_f32_16x16x32_fp8_fp8 v[84:87], a[130:131], a[10:11], v[84:87]// 0000000038C8: D3F30054 1D521582
	buffer_load_dwordx4 a[168:171], v79, s[24:27], 0 offen     // 0000000038D0: E05C1000 8086A84F
	v_mfma_f32_16x16x32_fp8_fp8 v[84:87], a[132:133], a[12:13], v[84:87]// 0000000038D8: D3F30054 1D521984
	v_mfma_f32_16x16x32_fp8_fp8 v[84:87], a[134:135], a[14:15], v[84:87]// 0000000038E0: D3F30054 1D521D86
	v_mfma_f32_16x16x32_fp8_fp8 v[116:119], a[136:137], a[8:9], v[116:119]// 0000000038E8: D3F30074 1DD21188
	v_mfma_f32_16x16x32_fp8_fp8 v[116:119], a[138:139], a[10:11], v[116:119]// 0000000038F0: D3F30074 1DD2158A
	buffer_load_dwordx4 a[172:175], v79, s[24:27], 0 offen offset:1024// 0000000038F8: E05C1400 8086AC4F
	buffer_load_dword v62, s[20:23], 0 offen lds               // 000000003900: E0511000 8005003E
	s_add_u32 m0, 0x100, s50                                   // 000000003908: 807C32FF 00000100
	v_mfma_f32_16x16x32_fp8_fp8 v[116:119], a[140:141], a[12:13], v[116:119]// 000000003910: D3F30074 1DD2198C
	v_mfma_f32_16x16x32_fp8_fp8 v[116:119], a[142:143], a[14:15], v[116:119]// 000000003918: D3F30074 1DD21D8E
	buffer_load_dword v63, s[20:23], 0 offen lds               // 000000003920: E0511000 8005003F
	s_add_u32 m0, 0x200, s50                                   // 000000003928: 807C32FF 00000200
	v_mfma_f32_16x16x32_fp8_fp8 v[88:91], a[128:129], a[16:17], v[88:91]// 000000003930: D3F30058 1D622180
	v_mfma_f32_16x16x32_fp8_fp8 v[88:91], a[130:131], a[18:19], v[88:91]// 000000003938: D3F30058 1D622582
	buffer_load_dword v64, s[20:23], 0 offen lds               // 000000003940: E0511000 80050040
	s_add_u32 m0, 0x300, s50                                   // 000000003948: 807C32FF 00000300
	v_mfma_f32_16x16x32_fp8_fp8 v[88:91], a[132:133], a[20:21], v[88:91]// 000000003950: D3F30058 1D622984
	v_mfma_f32_16x16x32_fp8_fp8 v[88:91], a[134:135], a[22:23], v[88:91]// 000000003958: D3F30058 1D622D86
	buffer_load_dword v65, s[20:23], 0 offen lds               // 000000003960: E0511000 80050041
	s_add_u32 m0, 0x400, s50                                   // 000000003968: 807C32FF 00000400
	v_mfma_f32_16x16x32_fp8_fp8 v[120:123], a[136:137], a[16:17], v[120:123]// 000000003970: D3F30078 1DE22188
	v_mfma_f32_16x16x32_fp8_fp8 v[120:123], a[138:139], a[18:19], v[120:123]// 000000003978: D3F30078 1DE2258A
	buffer_load_dword v66, s[20:23], 0 offen lds               // 000000003980: E0511000 80050042
	s_add_u32 m0, 0x500, s50                                   // 000000003988: 807C32FF 00000500
	v_mfma_f32_16x16x32_fp8_fp8 v[120:123], a[140:141], a[20:21], v[120:123]// 000000003990: D3F30078 1DE2298C
	v_mfma_f32_16x16x32_fp8_fp8 v[120:123], a[142:143], a[22:23], v[120:123]// 000000003998: D3F30078 1DE22D8E
	buffer_load_dword v67, s[20:23], 0 offen lds               // 0000000039A0: E0511000 80050043
	s_add_u32 m0, 0x600, s50                                   // 0000000039A8: 807C32FF 00000600
	v_mfma_f32_16x16x32_fp8_fp8 v[92:95], a[128:129], a[24:25], v[92:95]// 0000000039B0: D3F3005C 1D723180
	v_mfma_f32_16x16x32_fp8_fp8 v[92:95], a[130:131], a[26:27], v[92:95]// 0000000039B8: D3F3005C 1D723582
	buffer_load_dword v68, s[20:23], 0 offen lds               // 0000000039C0: E0511000 80050044
	s_add_u32 m0, 0x700, s50                                   // 0000000039C8: 807C32FF 00000700
	v_mfma_f32_16x16x32_fp8_fp8 v[92:95], a[132:133], a[28:29], v[92:95]// 0000000039D0: D3F3005C 1D723984
	v_mfma_f32_16x16x32_fp8_fp8 v[92:95], a[134:135], a[30:31], v[92:95]// 0000000039D8: D3F3005C 1D723D86
	buffer_load_dword v69, s[20:23], 0 offen lds               // 0000000039E0: E0511000 80050045
	s_add_u32 m0, 0x800, s50                                   // 0000000039E8: 807C32FF 00000800
	v_mfma_f32_16x16x32_fp8_fp8 v[124:127], a[136:137], a[24:25], v[124:127]// 0000000039F0: D3F3007C 1DF23188
	v_mfma_f32_16x16x32_fp8_fp8 v[124:127], a[138:139], a[26:27], v[124:127]// 0000000039F8: D3F3007C 1DF2358A
	buffer_load_dword v70, s[20:23], 0 offen lds               // 000000003A00: E0511000 80050046
	s_add_u32 m0, 0x900, s50                                   // 000000003A08: 807C32FF 00000900
	v_mfma_f32_16x16x32_fp8_fp8 v[124:127], a[140:141], a[28:29], v[124:127]// 000000003A10: D3F3007C 1DF2398C
	v_mfma_f32_16x16x32_fp8_fp8 v[124:127], a[142:143], a[30:31], v[124:127]// 000000003A18: D3F3007C 1DF23D8E
	buffer_load_dword v71, s[20:23], 0 offen lds               // 000000003A20: E0511000 80050047
	s_add_u32 m0, 0xa00, s50                                   // 000000003A28: 807C32FF 00000A00
	v_mfma_f32_16x16x32_fp8_fp8 v[96:99], a[128:129], a[32:33], v[96:99]// 000000003A30: D3F30060 1D824180
	v_mfma_f32_16x16x32_fp8_fp8 v[96:99], a[130:131], a[34:35], v[96:99]// 000000003A38: D3F30060 1D824582
	v_mfma_f32_16x16x32_fp8_fp8 v[96:99], a[132:133], a[36:37], v[96:99]// 000000003A40: D3F30060 1D824984
	v_mfma_f32_16x16x32_fp8_fp8 v[96:99], a[134:135], a[38:39], v[96:99]// 000000003A48: D3F30060 1D824D86
	v_mfma_f32_16x16x32_fp8_fp8 v[128:131], a[136:137], a[32:33], v[128:131]// 000000003A50: D3F30080 1E024188
	v_mfma_f32_16x16x32_fp8_fp8 v[128:131], a[138:139], a[34:35], v[128:131]// 000000003A58: D3F30080 1E02458A
	v_mfma_f32_16x16x32_fp8_fp8 v[128:131], a[140:141], a[36:37], v[128:131]// 000000003A60: D3F30080 1E02498C
	v_mfma_f32_16x16x32_fp8_fp8 v[128:131], a[142:143], a[38:39], v[128:131]// 000000003A68: D3F30080 1E024D8E
	v_mfma_f32_16x16x32_fp8_fp8 v[100:103], a[128:129], a[40:41], v[100:103]// 000000003A70: D3F30064 1D925180
	v_mfma_f32_16x16x32_fp8_fp8 v[100:103], a[130:131], a[42:43], v[100:103]// 000000003A78: D3F30064 1D925582
	buffer_load_dword v72, s[20:23], 0 offen lds               // 000000003A80: E0511000 80050048
	s_add_u32 m0, 0xb00, s50                                   // 000000003A88: 807C32FF 00000B00
	v_mfma_f32_16x16x32_fp8_fp8 v[100:103], a[132:133], a[44:45], v[100:103]// 000000003A90: D3F30064 1D925984
	v_mfma_f32_16x16x32_fp8_fp8 v[100:103], a[134:135], a[46:47], v[100:103]// 000000003A98: D3F30064 1D925D86
	buffer_load_dword v73, s[20:23], 0 offen lds               // 000000003AA0: E0511000 80050049
	s_add_u32 m0, 0xc00, s50                                   // 000000003AA8: 807C32FF 00000C00
	v_mfma_f32_16x16x32_fp8_fp8 v[132:135], a[136:137], a[40:41], v[132:135]// 000000003AB0: D3F30084 1E125188
	v_mfma_f32_16x16x32_fp8_fp8 v[132:135], a[138:139], a[42:43], v[132:135]// 000000003AB8: D3F30084 1E12558A
	buffer_load_dword v74, s[20:23], 0 offen lds               // 000000003AC0: E0511000 8005004A
	s_add_u32 m0, 0xd00, s50                                   // 000000003AC8: 807C32FF 00000D00
	v_mfma_f32_16x16x32_fp8_fp8 v[132:135], a[140:141], a[44:45], v[132:135]// 000000003AD0: D3F30084 1E12598C
	v_mfma_f32_16x16x32_fp8_fp8 v[132:135], a[142:143], a[46:47], v[132:135]// 000000003AD8: D3F30084 1E125D8E
	buffer_load_dword v75, s[20:23], 0 offen lds               // 000000003AE0: E0511000 8005004B
	s_add_u32 m0, 0xe00, s50                                   // 000000003AE8: 807C32FF 00000E00
	v_mfma_f32_16x16x32_fp8_fp8 v[104:107], a[128:129], a[48:49], v[104:107]// 000000003AF0: D3F30068 1DA26180
	v_mfma_f32_16x16x32_fp8_fp8 v[104:107], a[130:131], a[50:51], v[104:107]// 000000003AF8: D3F30068 1DA26582
	v_mfma_f32_16x16x32_fp8_fp8 v[104:107], a[132:133], a[52:53], v[104:107]// 000000003B00: D3F30068 1DA26984
	v_mfma_f32_16x16x32_fp8_fp8 v[104:107], a[134:135], a[54:55], v[104:107]// 000000003B08: D3F30068 1DA26D86
	v_mfma_f32_16x16x32_fp8_fp8 v[136:139], a[136:137], a[48:49], v[136:139]// 000000003B10: D3F30088 1E226188
	v_mfma_f32_16x16x32_fp8_fp8 v[136:139], a[138:139], a[50:51], v[136:139]// 000000003B18: D3F30088 1E22658A
	v_mfma_f32_16x16x32_fp8_fp8 v[136:139], a[140:141], a[52:53], v[136:139]// 000000003B20: D3F30088 1E22698C
	v_mfma_f32_16x16x32_fp8_fp8 v[136:139], a[142:143], a[54:55], v[136:139]// 000000003B28: D3F30088 1E226D8E
	v_mfma_f32_16x16x32_fp8_fp8 v[108:111], a[128:129], a[56:57], v[108:111]// 000000003B30: D3F3006C 1DB27180
	v_mfma_f32_16x16x32_fp8_fp8 v[108:111], a[130:131], a[58:59], v[108:111]// 000000003B38: D3F3006C 1DB27582
	buffer_load_dword v76, s[20:23], 0 offen lds               // 000000003B40: E0511000 8005004C
	s_add_u32 m0, 0xf00, s50                                   // 000000003B48: 807C32FF 00000F00
	v_mfma_f32_16x16x32_fp8_fp8 v[108:111], a[132:133], a[60:61], v[108:111]// 000000003B50: D3F3006C 1DB27984
	v_mfma_f32_16x16x32_fp8_fp8 v[108:111], a[134:135], a[62:63], v[108:111]// 000000003B58: D3F3006C 1DB27D86
	buffer_load_dword v77, s[20:23], 0 offen lds               // 000000003B60: E0511000 8005004D
	s_add_u32 m0, 0, s48                                       // 000000003B68: 807C3080
	v_mfma_f32_16x16x32_fp8_fp8 v[140:143], a[136:137], a[56:57], v[140:143]// 000000003B6C: D3F3008C 1E327188
	v_mfma_f32_16x16x32_fp8_fp8 v[140:143], a[138:139], a[58:59], v[140:143]// 000000003B74: D3F3008C 1E32758A
	v_mfma_f32_16x16x32_fp8_fp8 v[140:143], a[140:141], a[60:61], v[140:143]// 000000003B7C: D3F3008C 1E32798C
	v_mfma_f32_16x16x32_fp8_fp8 v[140:143], a[142:143], a[62:63], v[140:143]// 000000003B84: D3F3008C 1E327D8E
	s_waitcnt vmcnt(20)                                        // 000000003B8C: BF8C4F74
	s_barrier                                                  // 000000003B90: BF8A0000
	v_mfma_f32_16x16x32_fp8_fp8 v[144:147], a[144:145], a[0:1], v[144:147]// 000000003B94: D3F30090 1E420190
	v_mfma_f32_16x16x32_fp8_fp8 v[144:147], a[146:147], a[2:3], v[144:147]// 000000003B9C: D3F30090 1E420592
	buffer_load_dwordx4 a[128:131], v78, s[84:87], 0 offen     // 000000003BA4: E05C1000 8095804E
	v_mfma_f32_16x16x32_fp8_fp8 v[144:147], a[148:149], a[4:5], v[144:147]// 000000003BAC: D3F30090 1E420994
	v_mfma_f32_16x16x32_fp8_fp8 v[144:147], a[150:151], a[6:7], v[144:147]// 000000003BB4: D3F30090 1E420D96
	ds_read_b128 a[64:67], v2 offset:16512                     // 000000003BBC: DBFE4080 40000002
	ds_read_b128 a[68:71], v2 offset:16576                     // 000000003BC4: DBFE40C0 44000002
	v_mfma_f32_16x16x32_fp8_fp8 v[176:179], a[152:153], a[0:1], v[176:179]// 000000003BCC: D3F300B0 1EC20198
	v_mfma_f32_16x16x32_fp8_fp8 v[176:179], a[154:155], a[2:3], v[176:179]// 000000003BD4: D3F300B0 1EC2059A
	buffer_load_dwordx4 a[132:135], v78, s[84:87], 0 offen offset:1024// 000000003BDC: E05C1400 8095844E
	v_mfma_f32_16x16x32_fp8_fp8 v[176:179], a[156:157], a[4:5], v[176:179]// 000000003BE4: D3F300B0 1EC2099C
	v_mfma_f32_16x16x32_fp8_fp8 v[176:179], a[158:159], a[6:7], v[176:179]// 000000003BEC: D3F300B0 1EC20D9E
	ds_read_b128 a[72:75], v2 offset:17024                     // 000000003BF4: DBFE4280 48000002
	ds_read_b128 a[76:79], v2 offset:17088                     // 000000003BFC: DBFE42C0 4C000002
	v_mfma_f32_16x16x32_fp8_fp8 v[148:151], a[144:145], a[8:9], v[148:151]// 000000003C04: D3F30094 1E521190
	v_mfma_f32_16x16x32_fp8_fp8 v[148:151], a[146:147], a[10:11], v[148:151]// 000000003C0C: D3F30094 1E521592
	buffer_load_dwordx4 a[136:139], v79, s[84:87], 0 offen     // 000000003C14: E05C1000 8095884F
	v_mfma_f32_16x16x32_fp8_fp8 v[148:151], a[148:149], a[12:13], v[148:151]// 000000003C1C: D3F30094 1E521994
	v_mfma_f32_16x16x32_fp8_fp8 v[148:151], a[150:151], a[14:15], v[148:151]// 000000003C24: D3F30094 1E521D96
	ds_read_b128 a[80:83], v2 offset:17536                     // 000000003C2C: DBFE4480 50000002
	ds_read_b128 a[84:87], v2 offset:17600                     // 000000003C34: DBFE44C0 54000002
	v_mfma_f32_16x16x32_fp8_fp8 v[180:183], a[152:153], a[8:9], v[180:183]// 000000003C3C: D3F300B4 1ED21198
	v_mfma_f32_16x16x32_fp8_fp8 v[180:183], a[154:155], a[10:11], v[180:183]// 000000003C44: D3F300B4 1ED2159A
	buffer_load_dwordx4 a[140:143], v79, s[84:87], 0 offen offset:1024// 000000003C4C: E05C1400 80958C4F
	v_mfma_f32_16x16x32_fp8_fp8 v[180:183], a[156:157], a[12:13], v[180:183]// 000000003C54: D3F300B4 1ED2199C
	v_mfma_f32_16x16x32_fp8_fp8 v[180:183], a[158:159], a[14:15], v[180:183]// 000000003C5C: D3F300B4 1ED21D9E
	ds_read_b128 a[88:91], v2 offset:18048                     // 000000003C64: DBFE4680 58000002
	ds_read_b128 a[92:95], v2 offset:18112                     // 000000003C6C: DBFE46C0 5C000002
	v_mfma_f32_16x16x32_fp8_fp8 v[152:155], a[144:145], a[16:17], v[152:155]// 000000003C74: D3F30098 1E622190
	v_mfma_f32_16x16x32_fp8_fp8 v[152:155], a[146:147], a[18:19], v[152:155]// 000000003C7C: D3F30098 1E622592
	v_mfma_f32_16x16x32_fp8_fp8 v[152:155], a[148:149], a[20:21], v[152:155]// 000000003C84: D3F30098 1E622994
	v_mfma_f32_16x16x32_fp8_fp8 v[152:155], a[150:151], a[22:23], v[152:155]// 000000003C8C: D3F30098 1E622D96
	ds_read_b128 a[96:99], v2 offset:18560                     // 000000003C94: DBFE4880 60000002
	ds_read_b128 a[100:103], v2 offset:18624                   // 000000003C9C: DBFE48C0 64000002
	v_mfma_f32_16x16x32_fp8_fp8 v[184:187], a[152:153], a[16:17], v[184:187]// 000000003CA4: D3F300B8 1EE22198
	v_mfma_f32_16x16x32_fp8_fp8 v[184:187], a[154:155], a[18:19], v[184:187]// 000000003CAC: D3F300B8 1EE2259A
	v_mfma_f32_16x16x32_fp8_fp8 v[184:187], a[156:157], a[20:21], v[184:187]// 000000003CB4: D3F300B8 1EE2299C
	v_mfma_f32_16x16x32_fp8_fp8 v[184:187], a[158:159], a[22:23], v[184:187]// 000000003CBC: D3F300B8 1EE22D9E
	ds_read_b128 a[104:107], v2 offset:19072                   // 000000003CC4: DBFE4A80 68000002
	ds_read_b128 a[108:111], v2 offset:19136                   // 000000003CCC: DBFE4AC0 6C000002
	v_mfma_f32_16x16x32_fp8_fp8 v[156:159], a[144:145], a[24:25], v[156:159]// 000000003CD4: D3F3009C 1E723190
	v_mfma_f32_16x16x32_fp8_fp8 v[156:159], a[146:147], a[26:27], v[156:159]// 000000003CDC: D3F3009C 1E723592
	v_mfma_f32_16x16x32_fp8_fp8 v[156:159], a[148:149], a[28:29], v[156:159]// 000000003CE4: D3F3009C 1E723994
	v_mfma_f32_16x16x32_fp8_fp8 v[156:159], a[150:151], a[30:31], v[156:159]// 000000003CEC: D3F3009C 1E723D96
	ds_read_b128 a[112:115], v2 offset:19584                   // 000000003CF4: DBFE4C80 70000002
	ds_read_b128 a[116:119], v2 offset:19648                   // 000000003CFC: DBFE4CC0 74000002
	v_mfma_f32_16x16x32_fp8_fp8 v[188:191], a[152:153], a[24:25], v[188:191]// 000000003D04: D3F300BC 1EF23198
	v_mfma_f32_16x16x32_fp8_fp8 v[188:191], a[154:155], a[26:27], v[188:191]// 000000003D0C: D3F300BC 1EF2359A
	v_mfma_f32_16x16x32_fp8_fp8 v[188:191], a[156:157], a[28:29], v[188:191]// 000000003D14: D3F300BC 1EF2399C
	v_mfma_f32_16x16x32_fp8_fp8 v[188:191], a[158:159], a[30:31], v[188:191]// 000000003D1C: D3F300BC 1EF23D9E
	ds_read_b128 a[120:123], v2 offset:20096                   // 000000003D24: DBFE4E80 78000002
	ds_read_b128 a[124:127], v2 offset:20160                   // 000000003D2C: DBFE4EC0 7C000002
	v_mfma_f32_16x16x32_fp8_fp8 v[160:163], a[144:145], a[32:33], v[160:163]// 000000003D34: D3F300A0 1E824190
	v_mfma_f32_16x16x32_fp8_fp8 v[160:163], a[146:147], a[34:35], v[160:163]// 000000003D3C: D3F300A0 1E824592
	v_mfma_f32_16x16x32_fp8_fp8 v[160:163], a[148:149], a[36:37], v[160:163]// 000000003D44: D3F300A0 1E824994
	v_mfma_f32_16x16x32_fp8_fp8 v[160:163], a[150:151], a[38:39], v[160:163]// 000000003D4C: D3F300A0 1E824D96
	v_mfma_f32_16x16x32_fp8_fp8 v[192:195], a[152:153], a[32:33], v[192:195]// 000000003D54: D3F300C0 1F024198
	v_mfma_f32_16x16x32_fp8_fp8 v[192:195], a[154:155], a[34:35], v[192:195]// 000000003D5C: D3F300C0 1F02459A
	v_mfma_f32_16x16x32_fp8_fp8 v[192:195], a[156:157], a[36:37], v[192:195]// 000000003D64: D3F300C0 1F02499C
	v_mfma_f32_16x16x32_fp8_fp8 v[192:195], a[158:159], a[38:39], v[192:195]// 000000003D6C: D3F300C0 1F024D9E
	v_mfma_f32_16x16x32_fp8_fp8 v[164:167], a[144:145], a[40:41], v[164:167]// 000000003D74: D3F300A4 1E925190
	v_mfma_f32_16x16x32_fp8_fp8 v[164:167], a[146:147], a[42:43], v[164:167]// 000000003D7C: D3F300A4 1E925592
	v_mfma_f32_16x16x32_fp8_fp8 v[164:167], a[148:149], a[44:45], v[164:167]// 000000003D84: D3F300A4 1E925994
	v_mfma_f32_16x16x32_fp8_fp8 v[164:167], a[150:151], a[46:47], v[164:167]// 000000003D8C: D3F300A4 1E925D96
	v_mfma_f32_16x16x32_fp8_fp8 v[196:199], a[152:153], a[40:41], v[196:199]// 000000003D94: D3F300C4 1F125198
	v_mfma_f32_16x16x32_fp8_fp8 v[196:199], a[154:155], a[42:43], v[196:199]// 000000003D9C: D3F300C4 1F12559A
	v_mfma_f32_16x16x32_fp8_fp8 v[196:199], a[156:157], a[44:45], v[196:199]// 000000003DA4: D3F300C4 1F12599C
	v_mfma_f32_16x16x32_fp8_fp8 v[196:199], a[158:159], a[46:47], v[196:199]// 000000003DAC: D3F300C4 1F125D9E
	v_mfma_f32_16x16x32_fp8_fp8 v[168:171], a[144:145], a[48:49], v[168:171]// 000000003DB4: D3F300A8 1EA26190
	v_mfma_f32_16x16x32_fp8_fp8 v[168:171], a[146:147], a[50:51], v[168:171]// 000000003DBC: D3F300A8 1EA26592
	v_mfma_f32_16x16x32_fp8_fp8 v[168:171], a[148:149], a[52:53], v[168:171]// 000000003DC4: D3F300A8 1EA26994
	v_mfma_f32_16x16x32_fp8_fp8 v[168:171], a[150:151], a[54:55], v[168:171]// 000000003DCC: D3F300A8 1EA26D96
	v_mfma_f32_16x16x32_fp8_fp8 v[200:203], a[152:153], a[48:49], v[200:203]// 000000003DD4: D3F300C8 1F226198
	v_mfma_f32_16x16x32_fp8_fp8 v[200:203], a[154:155], a[50:51], v[200:203]// 000000003DDC: D3F300C8 1F22659A
	v_mfma_f32_16x16x32_fp8_fp8 v[200:203], a[156:157], a[52:53], v[200:203]// 000000003DE4: D3F300C8 1F22699C
	v_mfma_f32_16x16x32_fp8_fp8 v[200:203], a[158:159], a[54:55], v[200:203]// 000000003DEC: D3F300C8 1F226D9E
	v_mfma_f32_16x16x32_fp8_fp8 v[172:175], a[144:145], a[56:57], v[172:175]// 000000003DF4: D3F300AC 1EB27190
	s_add_u32 s60, 0x180, s80                                  // 000000003DFC: 803C50FF 00000180
	s_cmp_lt_u32 s60, s81                                      // 000000003E04: BF0A513C
	s_cselect_b32 s57, s57, 0                                  // 000000003E08: 85398039
	v_mfma_f32_16x16x32_fp8_fp8 v[172:175], a[146:147], a[58:59], v[172:175]// 000000003E0C: D3F300AC 1EB27592
	s_add_u32 s60, 0x100, s80                                  // 000000003E14: 803C50FF 00000100
	s_cmp_lt_u32 s60, s81                                      // 000000003E1C: BF0A513C
	s_cselect_b32 s58, s58, 0                                  // 000000003E20: 853A803A
	v_mfma_f32_16x16x32_fp8_fp8 v[172:175], a[148:149], a[60:61], v[172:175]// 000000003E24: D3F300AC 1EB27994
	s_add_u32 s60, 0x100, s80                                  // 000000003E2C: 803C50FF 00000100
	s_cmp_lt_u32 s60, s81                                      // 000000003E34: BF0A513C
	s_cselect_b32 s83, s83, 0                                  // 000000003E38: 85538053
	v_mfma_f32_16x16x32_fp8_fp8 v[172:175], a[150:151], a[62:63], v[172:175]// 000000003E3C: D3F300AC 1EB27D96
	s_add_u32 s24, s58, s24                                    // 000000003E44: 8018183A
	s_addc_u32 s25, 0, s25                                     // 000000003E48: 82191980
	v_mfma_f32_16x16x32_fp8_fp8 v[204:207], a[152:153], a[56:57], v[204:207]// 000000003E4C: D3F300CC 1F327198
	s_add_u32 s20, s57, s20                                    // 000000003E54: 80141439
	s_addc_u32 s21, 0, s21                                     // 000000003E58: 82151580
	v_mfma_f32_16x16x32_fp8_fp8 v[204:207], a[154:155], a[58:59], v[204:207]// 000000003E5C: D3F300CC 1F32759A
	s_add_u32 s84, s83, s84                                    // 000000003E64: 80545453
	s_addc_u32 s85, 0, s85                                     // 000000003E68: 82555580
	v_mfma_f32_16x16x32_fp8_fp8 v[204:207], a[156:157], a[60:61], v[204:207]// 000000003E6C: D3F300CC 1F32799C
	v_mfma_f32_16x16x32_fp8_fp8 v[204:207], a[158:159], a[62:63], v[204:207]// 000000003E74: D3F300CC 1F327D9E
	s_addk_i32 s80, 0x80                                       // 000000003E7C: B7500080
	s_cmp_lt_i32 s80, s81                                      // 000000003E80: BF045150
	s_cbranch_scc0 label_0CC6                                  // 000000003E84: BF8407A4
	s_waitcnt vmcnt(20) lgkmcnt(0)                             // 000000003E88: BF8C4074
	v_mfma_f32_16x16x32_fp8_fp8 v[80:83], a[160:161], a[64:65], v[80:83]// 000000003E8C: D3F30050 1D4281A0
	v_mfma_f32_16x16x32_fp8_fp8 v[80:83], a[162:163], a[66:67], v[80:83]// 000000003E94: D3F30050 1D4285A2
	buffer_load_dwordx4 a[144:147], v78, s[24:27], 0 offen     // 000000003E9C: E05C1000 8086904E
	v_mfma_f32_16x16x32_fp8_fp8 v[80:83], a[164:165], a[68:69], v[80:83]// 000000003EA4: D3F30050 1D4289A4
	v_mfma_f32_16x16x32_fp8_fp8 v[80:83], a[166:167], a[70:71], v[80:83]// 000000003EAC: D3F30050 1D428DA6
	v_mfma_f32_16x16x32_fp8_fp8 v[112:115], a[168:169], a[64:65], v[112:115]// 000000003EB4: D3F30070 1DC281A8
	v_mfma_f32_16x16x32_fp8_fp8 v[112:115], a[170:171], a[66:67], v[112:115]// 000000003EBC: D3F30070 1DC285AA
	buffer_load_dwordx4 a[148:151], v78, s[24:27], 0 offen offset:1024// 000000003EC4: E05C1400 8086944E
	v_mfma_f32_16x16x32_fp8_fp8 v[112:115], a[172:173], a[68:69], v[112:115]// 000000003ECC: D3F30070 1DC289AC
	v_mfma_f32_16x16x32_fp8_fp8 v[112:115], a[174:175], a[70:71], v[112:115]// 000000003ED4: D3F30070 1DC28DAE
	v_mfma_f32_16x16x32_fp8_fp8 v[84:87], a[160:161], a[72:73], v[84:87]// 000000003EDC: D3F30054 1D5291A0
	v_mfma_f32_16x16x32_fp8_fp8 v[84:87], a[162:163], a[74:75], v[84:87]// 000000003EE4: D3F30054 1D5295A2
	buffer_load_dwordx4 a[152:155], v79, s[24:27], 0 offen     // 000000003EEC: E05C1000 8086984F
	v_mfma_f32_16x16x32_fp8_fp8 v[84:87], a[164:165], a[76:77], v[84:87]// 000000003EF4: D3F30054 1D5299A4
	v_mfma_f32_16x16x32_fp8_fp8 v[84:87], a[166:167], a[78:79], v[84:87]// 000000003EFC: D3F30054 1D529DA6
	v_mfma_f32_16x16x32_fp8_fp8 v[116:119], a[168:169], a[72:73], v[116:119]// 000000003F04: D3F30074 1DD291A8
	v_mfma_f32_16x16x32_fp8_fp8 v[116:119], a[170:171], a[74:75], v[116:119]// 000000003F0C: D3F30074 1DD295AA
	buffer_load_dwordx4 a[156:159], v79, s[24:27], 0 offen offset:1024// 000000003F14: E05C1400 80869C4F
	buffer_load_dword v62, s[20:23], 0 offen lds               // 000000003F1C: E0511000 8005003E
	s_add_u32 m0, 0x100, s48                                   // 000000003F24: 807C30FF 00000100
	v_mfma_f32_16x16x32_fp8_fp8 v[116:119], a[172:173], a[76:77], v[116:119]// 000000003F2C: D3F30074 1DD299AC
	v_mfma_f32_16x16x32_fp8_fp8 v[116:119], a[174:175], a[78:79], v[116:119]// 000000003F34: D3F30074 1DD29DAE
	buffer_load_dword v63, s[20:23], 0 offen lds               // 000000003F3C: E0511000 8005003F
	s_add_u32 m0, 0x200, s48                                   // 000000003F44: 807C30FF 00000200
	v_mfma_f32_16x16x32_fp8_fp8 v[88:91], a[160:161], a[80:81], v[88:91]// 000000003F4C: D3F30058 1D62A1A0
	v_mfma_f32_16x16x32_fp8_fp8 v[88:91], a[162:163], a[82:83], v[88:91]// 000000003F54: D3F30058 1D62A5A2
	buffer_load_dword v64, s[20:23], 0 offen lds               // 000000003F5C: E0511000 80050040
	s_add_u32 m0, 0x300, s48                                   // 000000003F64: 807C30FF 00000300
	v_mfma_f32_16x16x32_fp8_fp8 v[88:91], a[164:165], a[84:85], v[88:91]// 000000003F6C: D3F30058 1D62A9A4
	v_mfma_f32_16x16x32_fp8_fp8 v[88:91], a[166:167], a[86:87], v[88:91]// 000000003F74: D3F30058 1D62ADA6
	buffer_load_dword v65, s[20:23], 0 offen lds               // 000000003F7C: E0511000 80050041
	s_add_u32 m0, 0x400, s48                                   // 000000003F84: 807C30FF 00000400
	v_mfma_f32_16x16x32_fp8_fp8 v[120:123], a[168:169], a[80:81], v[120:123]// 000000003F8C: D3F30078 1DE2A1A8
	v_mfma_f32_16x16x32_fp8_fp8 v[120:123], a[170:171], a[82:83], v[120:123]// 000000003F94: D3F30078 1DE2A5AA
	buffer_load_dword v66, s[20:23], 0 offen lds               // 000000003F9C: E0511000 80050042
	s_add_u32 m0, 0x500, s48                                   // 000000003FA4: 807C30FF 00000500
	v_mfma_f32_16x16x32_fp8_fp8 v[120:123], a[172:173], a[84:85], v[120:123]// 000000003FAC: D3F30078 1DE2A9AC
	v_mfma_f32_16x16x32_fp8_fp8 v[120:123], a[174:175], a[86:87], v[120:123]// 000000003FB4: D3F30078 1DE2ADAE
	buffer_load_dword v67, s[20:23], 0 offen lds               // 000000003FBC: E0511000 80050043
	s_add_u32 m0, 0x600, s48                                   // 000000003FC4: 807C30FF 00000600
	v_mfma_f32_16x16x32_fp8_fp8 v[92:95], a[160:161], a[88:89], v[92:95]// 000000003FCC: D3F3005C 1D72B1A0
	v_mfma_f32_16x16x32_fp8_fp8 v[92:95], a[162:163], a[90:91], v[92:95]// 000000003FD4: D3F3005C 1D72B5A2
	buffer_load_dword v68, s[20:23], 0 offen lds               // 000000003FDC: E0511000 80050044
	s_add_u32 m0, 0x700, s48                                   // 000000003FE4: 807C30FF 00000700
	v_mfma_f32_16x16x32_fp8_fp8 v[92:95], a[164:165], a[92:93], v[92:95]// 000000003FEC: D3F3005C 1D72B9A4
	v_mfma_f32_16x16x32_fp8_fp8 v[92:95], a[166:167], a[94:95], v[92:95]// 000000003FF4: D3F3005C 1D72BDA6
	buffer_load_dword v69, s[20:23], 0 offen lds               // 000000003FFC: E0511000 80050045
	s_add_u32 m0, 0x800, s48                                   // 000000004004: 807C30FF 00000800
	v_mfma_f32_16x16x32_fp8_fp8 v[124:127], a[168:169], a[88:89], v[124:127]// 00000000400C: D3F3007C 1DF2B1A8
	v_mfma_f32_16x16x32_fp8_fp8 v[124:127], a[170:171], a[90:91], v[124:127]// 000000004014: D3F3007C 1DF2B5AA
	buffer_load_dword v70, s[20:23], 0 offen lds               // 00000000401C: E0511000 80050046
	s_add_u32 m0, 0x900, s48                                   // 000000004024: 807C30FF 00000900
	v_mfma_f32_16x16x32_fp8_fp8 v[124:127], a[172:173], a[92:93], v[124:127]// 00000000402C: D3F3007C 1DF2B9AC
	v_mfma_f32_16x16x32_fp8_fp8 v[124:127], a[174:175], a[94:95], v[124:127]// 000000004034: D3F3007C 1DF2BDAE
	buffer_load_dword v71, s[20:23], 0 offen lds               // 00000000403C: E0511000 80050047
	s_add_u32 m0, 0xa00, s48                                   // 000000004044: 807C30FF 00000A00
	v_mfma_f32_16x16x32_fp8_fp8 v[96:99], a[160:161], a[96:97], v[96:99]// 00000000404C: D3F30060 1D82C1A0
	v_mfma_f32_16x16x32_fp8_fp8 v[96:99], a[162:163], a[98:99], v[96:99]// 000000004054: D3F30060 1D82C5A2
	v_mfma_f32_16x16x32_fp8_fp8 v[96:99], a[164:165], a[100:101], v[96:99]// 00000000405C: D3F30060 1D82C9A4
	v_mfma_f32_16x16x32_fp8_fp8 v[96:99], a[166:167], a[102:103], v[96:99]// 000000004064: D3F30060 1D82CDA6
	v_mfma_f32_16x16x32_fp8_fp8 v[128:131], a[168:169], a[96:97], v[128:131]// 00000000406C: D3F30080 1E02C1A8
	v_mfma_f32_16x16x32_fp8_fp8 v[128:131], a[170:171], a[98:99], v[128:131]// 000000004074: D3F30080 1E02C5AA
	v_mfma_f32_16x16x32_fp8_fp8 v[128:131], a[172:173], a[100:101], v[128:131]// 00000000407C: D3F30080 1E02C9AC
	v_mfma_f32_16x16x32_fp8_fp8 v[128:131], a[174:175], a[102:103], v[128:131]// 000000004084: D3F30080 1E02CDAE
	v_mfma_f32_16x16x32_fp8_fp8 v[100:103], a[160:161], a[104:105], v[100:103]// 00000000408C: D3F30064 1D92D1A0
	v_mfma_f32_16x16x32_fp8_fp8 v[100:103], a[162:163], a[106:107], v[100:103]// 000000004094: D3F30064 1D92D5A2
	buffer_load_dword v72, s[20:23], 0 offen lds               // 00000000409C: E0511000 80050048
	s_add_u32 m0, 0xb00, s48                                   // 0000000040A4: 807C30FF 00000B00
	v_mfma_f32_16x16x32_fp8_fp8 v[100:103], a[164:165], a[108:109], v[100:103]// 0000000040AC: D3F30064 1D92D9A4
	v_mfma_f32_16x16x32_fp8_fp8 v[100:103], a[166:167], a[110:111], v[100:103]// 0000000040B4: D3F30064 1D92DDA6
	buffer_load_dword v73, s[20:23], 0 offen lds               // 0000000040BC: E0511000 80050049
	s_add_u32 m0, 0xc00, s48                                   // 0000000040C4: 807C30FF 00000C00
	v_mfma_f32_16x16x32_fp8_fp8 v[132:135], a[168:169], a[104:105], v[132:135]// 0000000040CC: D3F30084 1E12D1A8
	v_mfma_f32_16x16x32_fp8_fp8 v[132:135], a[170:171], a[106:107], v[132:135]// 0000000040D4: D3F30084 1E12D5AA
	buffer_load_dword v74, s[20:23], 0 offen lds               // 0000000040DC: E0511000 8005004A
	s_add_u32 m0, 0xd00, s48                                   // 0000000040E4: 807C30FF 00000D00
	v_mfma_f32_16x16x32_fp8_fp8 v[132:135], a[172:173], a[108:109], v[132:135]// 0000000040EC: D3F30084 1E12D9AC
	v_mfma_f32_16x16x32_fp8_fp8 v[132:135], a[174:175], a[110:111], v[132:135]// 0000000040F4: D3F30084 1E12DDAE
	buffer_load_dword v75, s[20:23], 0 offen lds               // 0000000040FC: E0511000 8005004B
	s_add_u32 m0, 0xe00, s48                                   // 000000004104: 807C30FF 00000E00
	v_mfma_f32_16x16x32_fp8_fp8 v[104:107], a[160:161], a[112:113], v[104:107]// 00000000410C: D3F30068 1DA2E1A0
	v_mfma_f32_16x16x32_fp8_fp8 v[104:107], a[162:163], a[114:115], v[104:107]// 000000004114: D3F30068 1DA2E5A2
	v_mfma_f32_16x16x32_fp8_fp8 v[104:107], a[164:165], a[116:117], v[104:107]// 00000000411C: D3F30068 1DA2E9A4
	v_mfma_f32_16x16x32_fp8_fp8 v[104:107], a[166:167], a[118:119], v[104:107]// 000000004124: D3F30068 1DA2EDA6
	v_mfma_f32_16x16x32_fp8_fp8 v[136:139], a[168:169], a[112:113], v[136:139]// 00000000412C: D3F30088 1E22E1A8
	v_mfma_f32_16x16x32_fp8_fp8 v[136:139], a[170:171], a[114:115], v[136:139]// 000000004134: D3F30088 1E22E5AA
	v_mfma_f32_16x16x32_fp8_fp8 v[136:139], a[172:173], a[116:117], v[136:139]// 00000000413C: D3F30088 1E22E9AC
	v_mfma_f32_16x16x32_fp8_fp8 v[136:139], a[174:175], a[118:119], v[136:139]// 000000004144: D3F30088 1E22EDAE
	v_mfma_f32_16x16x32_fp8_fp8 v[108:111], a[160:161], a[120:121], v[108:111]// 00000000414C: D3F3006C 1DB2F1A0
	v_mfma_f32_16x16x32_fp8_fp8 v[108:111], a[162:163], a[122:123], v[108:111]// 000000004154: D3F3006C 1DB2F5A2
	buffer_load_dword v76, s[20:23], 0 offen lds               // 00000000415C: E0511000 8005004C
	s_add_u32 m0, 0xf00, s48                                   // 000000004164: 807C30FF 00000F00
	v_mfma_f32_16x16x32_fp8_fp8 v[108:111], a[164:165], a[124:125], v[108:111]// 00000000416C: D3F3006C 1DB2F9A4
	v_mfma_f32_16x16x32_fp8_fp8 v[108:111], a[166:167], a[126:127], v[108:111]// 000000004174: D3F3006C 1DB2FDA6
	buffer_load_dword v77, s[20:23], 0 offen lds               // 00000000417C: E0511000 8005004D
	s_add_u32 m0, 0, s49                                       // 000000004184: 807C3180
	v_mfma_f32_16x16x32_fp8_fp8 v[140:143], a[168:169], a[120:121], v[140:143]// 000000004188: D3F3008C 1E32F1A8
	v_mfma_f32_16x16x32_fp8_fp8 v[140:143], a[170:171], a[122:123], v[140:143]// 000000004190: D3F3008C 1E32F5AA
	v_mfma_f32_16x16x32_fp8_fp8 v[140:143], a[172:173], a[124:125], v[140:143]// 000000004198: D3F3008C 1E32F9AC
	v_mfma_f32_16x16x32_fp8_fp8 v[140:143], a[174:175], a[126:127], v[140:143]// 0000000041A0: D3F3008C 1E32FDAE
	s_waitcnt vmcnt(20)                                        // 0000000041A8: BF8C4F74
	s_barrier                                                  // 0000000041AC: BF8A0000
	v_mfma_f32_16x16x32_fp8_fp8 v[144:147], a[128:129], a[64:65], v[144:147]// 0000000041B0: D3F30090 1E428180
	v_mfma_f32_16x16x32_fp8_fp8 v[144:147], a[130:131], a[66:67], v[144:147]// 0000000041B8: D3F30090 1E428582
	buffer_load_dwordx4 a[160:163], v78, s[84:87], 0 offen     // 0000000041C0: E05C1000 8095A04E
	v_mfma_f32_16x16x32_fp8_fp8 v[144:147], a[132:133], a[68:69], v[144:147]// 0000000041C8: D3F30090 1E428984
	v_mfma_f32_16x16x32_fp8_fp8 v[144:147], a[134:135], a[70:71], v[144:147]// 0000000041D0: D3F30090 1E428D86
	ds_read_b128 a[0:3], v2 offset:33024                       // 0000000041D8: DBFE8100 00000002
	ds_read_b128 a[4:7], v2 offset:33088                       // 0000000041E0: DBFE8140 04000002
	v_mfma_f32_16x16x32_fp8_fp8 v[176:179], a[136:137], a[64:65], v[176:179]// 0000000041E8: D3F300B0 1EC28188
	v_mfma_f32_16x16x32_fp8_fp8 v[176:179], a[138:139], a[66:67], v[176:179]// 0000000041F0: D3F300B0 1EC2858A
	buffer_load_dwordx4 a[164:167], v78, s[84:87], 0 offen offset:1024// 0000000041F8: E05C1400 8095A44E
	v_mfma_f32_16x16x32_fp8_fp8 v[176:179], a[140:141], a[68:69], v[176:179]// 000000004200: D3F300B0 1EC2898C
	v_mfma_f32_16x16x32_fp8_fp8 v[176:179], a[142:143], a[70:71], v[176:179]// 000000004208: D3F300B0 1EC28D8E
	ds_read_b128 a[8:11], v2 offset:33536                      // 000000004210: DBFE8300 08000002
	ds_read_b128 a[12:15], v2 offset:33600                     // 000000004218: DBFE8340 0C000002
	v_mfma_f32_16x16x32_fp8_fp8 v[148:151], a[128:129], a[72:73], v[148:151]// 000000004220: D3F30094 1E529180
	v_mfma_f32_16x16x32_fp8_fp8 v[148:151], a[130:131], a[74:75], v[148:151]// 000000004228: D3F30094 1E529582
	buffer_load_dwordx4 a[168:171], v79, s[84:87], 0 offen     // 000000004230: E05C1000 8095A84F
	v_mfma_f32_16x16x32_fp8_fp8 v[148:151], a[132:133], a[76:77], v[148:151]// 000000004238: D3F30094 1E529984
	v_mfma_f32_16x16x32_fp8_fp8 v[148:151], a[134:135], a[78:79], v[148:151]// 000000004240: D3F30094 1E529D86
	ds_read_b128 a[16:19], v2 offset:34048                     // 000000004248: DBFE8500 10000002
	ds_read_b128 a[20:23], v2 offset:34112                     // 000000004250: DBFE8540 14000002
	v_mfma_f32_16x16x32_fp8_fp8 v[180:183], a[136:137], a[72:73], v[180:183]// 000000004258: D3F300B4 1ED29188
	v_mfma_f32_16x16x32_fp8_fp8 v[180:183], a[138:139], a[74:75], v[180:183]// 000000004260: D3F300B4 1ED2958A
	buffer_load_dwordx4 a[172:175], v79, s[84:87], 0 offen offset:1024// 000000004268: E05C1400 8095AC4F
	v_mfma_f32_16x16x32_fp8_fp8 v[180:183], a[140:141], a[76:77], v[180:183]// 000000004270: D3F300B4 1ED2998C
	v_mfma_f32_16x16x32_fp8_fp8 v[180:183], a[142:143], a[78:79], v[180:183]// 000000004278: D3F300B4 1ED29D8E
	ds_read_b128 a[24:27], v2 offset:34560                     // 000000004280: DBFE8700 18000002
	ds_read_b128 a[28:31], v2 offset:34624                     // 000000004288: DBFE8740 1C000002
	v_mfma_f32_16x16x32_fp8_fp8 v[152:155], a[128:129], a[80:81], v[152:155]// 000000004290: D3F30098 1E62A180
	v_mfma_f32_16x16x32_fp8_fp8 v[152:155], a[130:131], a[82:83], v[152:155]// 000000004298: D3F30098 1E62A582
	v_mfma_f32_16x16x32_fp8_fp8 v[152:155], a[132:133], a[84:85], v[152:155]// 0000000042A0: D3F30098 1E62A984
	v_mfma_f32_16x16x32_fp8_fp8 v[152:155], a[134:135], a[86:87], v[152:155]// 0000000042A8: D3F30098 1E62AD86
	ds_read_b128 a[32:35], v2 offset:35072                     // 0000000042B0: DBFE8900 20000002
	ds_read_b128 a[36:39], v2 offset:35136                     // 0000000042B8: DBFE8940 24000002
	v_mfma_f32_16x16x32_fp8_fp8 v[184:187], a[136:137], a[80:81], v[184:187]// 0000000042C0: D3F300B8 1EE2A188
	v_mfma_f32_16x16x32_fp8_fp8 v[184:187], a[138:139], a[82:83], v[184:187]// 0000000042C8: D3F300B8 1EE2A58A
	v_mfma_f32_16x16x32_fp8_fp8 v[184:187], a[140:141], a[84:85], v[184:187]// 0000000042D0: D3F300B8 1EE2A98C
	v_mfma_f32_16x16x32_fp8_fp8 v[184:187], a[142:143], a[86:87], v[184:187]// 0000000042D8: D3F300B8 1EE2AD8E
	ds_read_b128 a[40:43], v2 offset:35584                     // 0000000042E0: DBFE8B00 28000002
	ds_read_b128 a[44:47], v2 offset:35648                     // 0000000042E8: DBFE8B40 2C000002
	v_mfma_f32_16x16x32_fp8_fp8 v[156:159], a[128:129], a[88:89], v[156:159]// 0000000042F0: D3F3009C 1E72B180
	v_mfma_f32_16x16x32_fp8_fp8 v[156:159], a[130:131], a[90:91], v[156:159]// 0000000042F8: D3F3009C 1E72B582
	v_mfma_f32_16x16x32_fp8_fp8 v[156:159], a[132:133], a[92:93], v[156:159]// 000000004300: D3F3009C 1E72B984
	v_mfma_f32_16x16x32_fp8_fp8 v[156:159], a[134:135], a[94:95], v[156:159]// 000000004308: D3F3009C 1E72BD86
	ds_read_b128 a[48:51], v2 offset:36096                     // 000000004310: DBFE8D00 30000002
	ds_read_b128 a[52:55], v2 offset:36160                     // 000000004318: DBFE8D40 34000002
	v_mfma_f32_16x16x32_fp8_fp8 v[188:191], a[136:137], a[88:89], v[188:191]// 000000004320: D3F300BC 1EF2B188
	v_mfma_f32_16x16x32_fp8_fp8 v[188:191], a[138:139], a[90:91], v[188:191]// 000000004328: D3F300BC 1EF2B58A
	v_mfma_f32_16x16x32_fp8_fp8 v[188:191], a[140:141], a[92:93], v[188:191]// 000000004330: D3F300BC 1EF2B98C
	v_mfma_f32_16x16x32_fp8_fp8 v[188:191], a[142:143], a[94:95], v[188:191]// 000000004338: D3F300BC 1EF2BD8E
	ds_read_b128 a[56:59], v2 offset:36608                     // 000000004340: DBFE8F00 38000002
	ds_read_b128 a[60:63], v2 offset:36672                     // 000000004348: DBFE8F40 3C000002
	v_mfma_f32_16x16x32_fp8_fp8 v[160:163], a[128:129], a[96:97], v[160:163]// 000000004350: D3F300A0 1E82C180
	v_mfma_f32_16x16x32_fp8_fp8 v[160:163], a[130:131], a[98:99], v[160:163]// 000000004358: D3F300A0 1E82C582
	v_mfma_f32_16x16x32_fp8_fp8 v[160:163], a[132:133], a[100:101], v[160:163]// 000000004360: D3F300A0 1E82C984
	v_mfma_f32_16x16x32_fp8_fp8 v[160:163], a[134:135], a[102:103], v[160:163]// 000000004368: D3F300A0 1E82CD86
	v_mfma_f32_16x16x32_fp8_fp8 v[192:195], a[136:137], a[96:97], v[192:195]// 000000004370: D3F300C0 1F02C188
	v_mfma_f32_16x16x32_fp8_fp8 v[192:195], a[138:139], a[98:99], v[192:195]// 000000004378: D3F300C0 1F02C58A
	v_mfma_f32_16x16x32_fp8_fp8 v[192:195], a[140:141], a[100:101], v[192:195]// 000000004380: D3F300C0 1F02C98C
	v_mfma_f32_16x16x32_fp8_fp8 v[192:195], a[142:143], a[102:103], v[192:195]// 000000004388: D3F300C0 1F02CD8E
	v_mfma_f32_16x16x32_fp8_fp8 v[164:167], a[128:129], a[104:105], v[164:167]// 000000004390: D3F300A4 1E92D180
	v_mfma_f32_16x16x32_fp8_fp8 v[164:167], a[130:131], a[106:107], v[164:167]// 000000004398: D3F300A4 1E92D582
	v_mfma_f32_16x16x32_fp8_fp8 v[164:167], a[132:133], a[108:109], v[164:167]// 0000000043A0: D3F300A4 1E92D984
	v_mfma_f32_16x16x32_fp8_fp8 v[164:167], a[134:135], a[110:111], v[164:167]// 0000000043A8: D3F300A4 1E92DD86
	v_mfma_f32_16x16x32_fp8_fp8 v[196:199], a[136:137], a[104:105], v[196:199]// 0000000043B0: D3F300C4 1F12D188
	v_mfma_f32_16x16x32_fp8_fp8 v[196:199], a[138:139], a[106:107], v[196:199]// 0000000043B8: D3F300C4 1F12D58A
	v_mfma_f32_16x16x32_fp8_fp8 v[196:199], a[140:141], a[108:109], v[196:199]// 0000000043C0: D3F300C4 1F12D98C
	v_mfma_f32_16x16x32_fp8_fp8 v[196:199], a[142:143], a[110:111], v[196:199]// 0000000043C8: D3F300C4 1F12DD8E
	v_mfma_f32_16x16x32_fp8_fp8 v[168:171], a[128:129], a[112:113], v[168:171]// 0000000043D0: D3F300A8 1EA2E180
	v_mfma_f32_16x16x32_fp8_fp8 v[168:171], a[130:131], a[114:115], v[168:171]// 0000000043D8: D3F300A8 1EA2E582
	v_mfma_f32_16x16x32_fp8_fp8 v[168:171], a[132:133], a[116:117], v[168:171]// 0000000043E0: D3F300A8 1EA2E984
	v_mfma_f32_16x16x32_fp8_fp8 v[168:171], a[134:135], a[118:119], v[168:171]// 0000000043E8: D3F300A8 1EA2ED86
	v_mfma_f32_16x16x32_fp8_fp8 v[200:203], a[136:137], a[112:113], v[200:203]// 0000000043F0: D3F300C8 1F22E188
	v_mfma_f32_16x16x32_fp8_fp8 v[200:203], a[138:139], a[114:115], v[200:203]// 0000000043F8: D3F300C8 1F22E58A
	v_mfma_f32_16x16x32_fp8_fp8 v[200:203], a[140:141], a[116:117], v[200:203]// 000000004400: D3F300C8 1F22E98C
	v_mfma_f32_16x16x32_fp8_fp8 v[200:203], a[142:143], a[118:119], v[200:203]// 000000004408: D3F300C8 1F22ED8E
	v_mfma_f32_16x16x32_fp8_fp8 v[172:175], a[128:129], a[120:121], v[172:175]// 000000004410: D3F300AC 1EB2F180
	s_add_u32 s60, 0x180, s80                                  // 000000004418: 803C50FF 00000180
	s_cmp_lt_u32 s60, s81                                      // 000000004420: BF0A513C
	s_cselect_b32 s57, s57, 0                                  // 000000004424: 85398039
	v_mfma_f32_16x16x32_fp8_fp8 v[172:175], a[130:131], a[122:123], v[172:175]// 000000004428: D3F300AC 1EB2F582
	s_add_u32 s60, 0x100, s80                                  // 000000004430: 803C50FF 00000100
	s_cmp_lt_u32 s60, s81                                      // 000000004438: BF0A513C
	s_cselect_b32 s58, s58, 0                                  // 00000000443C: 853A803A
	v_mfma_f32_16x16x32_fp8_fp8 v[172:175], a[132:133], a[124:125], v[172:175]// 000000004440: D3F300AC 1EB2F984
	s_add_u32 s60, 0x100, s80                                  // 000000004448: 803C50FF 00000100
	s_cmp_lt_u32 s60, s81                                      // 000000004450: BF0A513C
	s_cselect_b32 s83, s83, 0                                  // 000000004454: 85538053
	v_mfma_f32_16x16x32_fp8_fp8 v[172:175], a[134:135], a[126:127], v[172:175]// 000000004458: D3F300AC 1EB2FD86
	s_add_u32 s24, s58, s24                                    // 000000004460: 8018183A
	s_addc_u32 s25, 0, s25                                     // 000000004464: 82191980
	v_mfma_f32_16x16x32_fp8_fp8 v[204:207], a[136:137], a[120:121], v[204:207]// 000000004468: D3F300CC 1F32F188
	s_add_u32 s20, s57, s20                                    // 000000004470: 80141439
	s_addc_u32 s21, 0, s21                                     // 000000004474: 82151580
	v_mfma_f32_16x16x32_fp8_fp8 v[204:207], a[138:139], a[122:123], v[204:207]// 000000004478: D3F300CC 1F32F58A
	s_add_u32 s84, s83, s84                                    // 000000004480: 80545453
	s_addc_u32 s85, 0, s85                                     // 000000004484: 82555580
	v_mfma_f32_16x16x32_fp8_fp8 v[204:207], a[140:141], a[124:125], v[204:207]// 000000004488: D3F300CC 1F32F98C
	v_mfma_f32_16x16x32_fp8_fp8 v[204:207], a[142:143], a[126:127], v[204:207]// 000000004490: D3F300CC 1F32FD8E
	s_addk_i32 s80, 0x80                                       // 000000004498: B7500080
	s_cmp_lt_i32 s80, s81                                      // 00000000449C: BF045150
	s_cbranch_scc0 label_0CC6                                  // 0000000044A0: BF84061D
	s_waitcnt vmcnt(20) lgkmcnt(0)                             // 0000000044A4: BF8C4074
	v_mfma_f32_16x16x32_fp8_fp8 v[80:83], a[144:145], a[0:1], v[80:83]// 0000000044A8: D3F30050 1D420190
	v_mfma_f32_16x16x32_fp8_fp8 v[80:83], a[146:147], a[2:3], v[80:83]// 0000000044B0: D3F30050 1D420592
	buffer_load_dwordx4 a[128:131], v78, s[24:27], 0 offen     // 0000000044B8: E05C1000 8086804E
	v_mfma_f32_16x16x32_fp8_fp8 v[80:83], a[148:149], a[4:5], v[80:83]// 0000000044C0: D3F30050 1D420994
	v_mfma_f32_16x16x32_fp8_fp8 v[80:83], a[150:151], a[6:7], v[80:83]// 0000000044C8: D3F30050 1D420D96
	v_mfma_f32_16x16x32_fp8_fp8 v[112:115], a[152:153], a[0:1], v[112:115]// 0000000044D0: D3F30070 1DC20198
	v_mfma_f32_16x16x32_fp8_fp8 v[112:115], a[154:155], a[2:3], v[112:115]// 0000000044D8: D3F30070 1DC2059A
	buffer_load_dwordx4 a[132:135], v78, s[24:27], 0 offen offset:1024// 0000000044E0: E05C1400 8086844E
	v_mfma_f32_16x16x32_fp8_fp8 v[112:115], a[156:157], a[4:5], v[112:115]// 0000000044E8: D3F30070 1DC2099C
	v_mfma_f32_16x16x32_fp8_fp8 v[112:115], a[158:159], a[6:7], v[112:115]// 0000000044F0: D3F30070 1DC20D9E
	v_mfma_f32_16x16x32_fp8_fp8 v[84:87], a[144:145], a[8:9], v[84:87]// 0000000044F8: D3F30054 1D521190
	v_mfma_f32_16x16x32_fp8_fp8 v[84:87], a[146:147], a[10:11], v[84:87]// 000000004500: D3F30054 1D521592
	buffer_load_dwordx4 a[136:139], v79, s[24:27], 0 offen     // 000000004508: E05C1000 8086884F
	v_mfma_f32_16x16x32_fp8_fp8 v[84:87], a[148:149], a[12:13], v[84:87]// 000000004510: D3F30054 1D521994
	v_mfma_f32_16x16x32_fp8_fp8 v[84:87], a[150:151], a[14:15], v[84:87]// 000000004518: D3F30054 1D521D96
	v_mfma_f32_16x16x32_fp8_fp8 v[116:119], a[152:153], a[8:9], v[116:119]// 000000004520: D3F30074 1DD21198
	v_mfma_f32_16x16x32_fp8_fp8 v[116:119], a[154:155], a[10:11], v[116:119]// 000000004528: D3F30074 1DD2159A
	buffer_load_dwordx4 a[140:143], v79, s[24:27], 0 offen offset:1024// 000000004530: E05C1400 80868C4F
	buffer_load_dword v62, s[20:23], 0 offen lds               // 000000004538: E0511000 8005003E
	s_add_u32 m0, 0x100, s49                                   // 000000004540: 807C31FF 00000100
	v_mfma_f32_16x16x32_fp8_fp8 v[116:119], a[156:157], a[12:13], v[116:119]// 000000004548: D3F30074 1DD2199C
	v_mfma_f32_16x16x32_fp8_fp8 v[116:119], a[158:159], a[14:15], v[116:119]// 000000004550: D3F30074 1DD21D9E
	buffer_load_dword v63, s[20:23], 0 offen lds               // 000000004558: E0511000 8005003F
	s_add_u32 m0, 0x200, s49                                   // 000000004560: 807C31FF 00000200
	v_mfma_f32_16x16x32_fp8_fp8 v[88:91], a[144:145], a[16:17], v[88:91]// 000000004568: D3F30058 1D622190
	v_mfma_f32_16x16x32_fp8_fp8 v[88:91], a[146:147], a[18:19], v[88:91]// 000000004570: D3F30058 1D622592
	buffer_load_dword v64, s[20:23], 0 offen lds               // 000000004578: E0511000 80050040
	s_add_u32 m0, 0x300, s49                                   // 000000004580: 807C31FF 00000300
	v_mfma_f32_16x16x32_fp8_fp8 v[88:91], a[148:149], a[20:21], v[88:91]// 000000004588: D3F30058 1D622994
	v_mfma_f32_16x16x32_fp8_fp8 v[88:91], a[150:151], a[22:23], v[88:91]// 000000004590: D3F30058 1D622D96
	buffer_load_dword v65, s[20:23], 0 offen lds               // 000000004598: E0511000 80050041
	s_add_u32 m0, 0x400, s49                                   // 0000000045A0: 807C31FF 00000400
	v_mfma_f32_16x16x32_fp8_fp8 v[120:123], a[152:153], a[16:17], v[120:123]// 0000000045A8: D3F30078 1DE22198
	v_mfma_f32_16x16x32_fp8_fp8 v[120:123], a[154:155], a[18:19], v[120:123]// 0000000045B0: D3F30078 1DE2259A
	buffer_load_dword v66, s[20:23], 0 offen lds               // 0000000045B8: E0511000 80050042
	s_add_u32 m0, 0x500, s49                                   // 0000000045C0: 807C31FF 00000500
	v_mfma_f32_16x16x32_fp8_fp8 v[120:123], a[156:157], a[20:21], v[120:123]// 0000000045C8: D3F30078 1DE2299C
	v_mfma_f32_16x16x32_fp8_fp8 v[120:123], a[158:159], a[22:23], v[120:123]// 0000000045D0: D3F30078 1DE22D9E
	buffer_load_dword v67, s[20:23], 0 offen lds               // 0000000045D8: E0511000 80050043
	s_add_u32 m0, 0x600, s49                                   // 0000000045E0: 807C31FF 00000600
	v_mfma_f32_16x16x32_fp8_fp8 v[92:95], a[144:145], a[24:25], v[92:95]// 0000000045E8: D3F3005C 1D723190
	v_mfma_f32_16x16x32_fp8_fp8 v[92:95], a[146:147], a[26:27], v[92:95]// 0000000045F0: D3F3005C 1D723592
	buffer_load_dword v68, s[20:23], 0 offen lds               // 0000000045F8: E0511000 80050044
	s_add_u32 m0, 0x700, s49                                   // 000000004600: 807C31FF 00000700
	v_mfma_f32_16x16x32_fp8_fp8 v[92:95], a[148:149], a[28:29], v[92:95]// 000000004608: D3F3005C 1D723994
	v_mfma_f32_16x16x32_fp8_fp8 v[92:95], a[150:151], a[30:31], v[92:95]// 000000004610: D3F3005C 1D723D96
	buffer_load_dword v69, s[20:23], 0 offen lds               // 000000004618: E0511000 80050045
	s_add_u32 m0, 0x800, s49                                   // 000000004620: 807C31FF 00000800
	v_mfma_f32_16x16x32_fp8_fp8 v[124:127], a[152:153], a[24:25], v[124:127]// 000000004628: D3F3007C 1DF23198
	v_mfma_f32_16x16x32_fp8_fp8 v[124:127], a[154:155], a[26:27], v[124:127]// 000000004630: D3F3007C 1DF2359A
	buffer_load_dword v70, s[20:23], 0 offen lds               // 000000004638: E0511000 80050046
	s_add_u32 m0, 0x900, s49                                   // 000000004640: 807C31FF 00000900
	v_mfma_f32_16x16x32_fp8_fp8 v[124:127], a[156:157], a[28:29], v[124:127]// 000000004648: D3F3007C 1DF2399C
	v_mfma_f32_16x16x32_fp8_fp8 v[124:127], a[158:159], a[30:31], v[124:127]// 000000004650: D3F3007C 1DF23D9E
	buffer_load_dword v71, s[20:23], 0 offen lds               // 000000004658: E0511000 80050047
	s_add_u32 m0, 0xa00, s49                                   // 000000004660: 807C31FF 00000A00
	v_mfma_f32_16x16x32_fp8_fp8 v[96:99], a[144:145], a[32:33], v[96:99]// 000000004668: D3F30060 1D824190
	v_mfma_f32_16x16x32_fp8_fp8 v[96:99], a[146:147], a[34:35], v[96:99]// 000000004670: D3F30060 1D824592
	v_mfma_f32_16x16x32_fp8_fp8 v[96:99], a[148:149], a[36:37], v[96:99]// 000000004678: D3F30060 1D824994
	v_mfma_f32_16x16x32_fp8_fp8 v[96:99], a[150:151], a[38:39], v[96:99]// 000000004680: D3F30060 1D824D96
	v_mfma_f32_16x16x32_fp8_fp8 v[128:131], a[152:153], a[32:33], v[128:131]// 000000004688: D3F30080 1E024198
	v_mfma_f32_16x16x32_fp8_fp8 v[128:131], a[154:155], a[34:35], v[128:131]// 000000004690: D3F30080 1E02459A
	v_mfma_f32_16x16x32_fp8_fp8 v[128:131], a[156:157], a[36:37], v[128:131]// 000000004698: D3F30080 1E02499C
	v_mfma_f32_16x16x32_fp8_fp8 v[128:131], a[158:159], a[38:39], v[128:131]// 0000000046A0: D3F30080 1E024D9E
	v_mfma_f32_16x16x32_fp8_fp8 v[100:103], a[144:145], a[40:41], v[100:103]// 0000000046A8: D3F30064 1D925190
	v_mfma_f32_16x16x32_fp8_fp8 v[100:103], a[146:147], a[42:43], v[100:103]// 0000000046B0: D3F30064 1D925592
	buffer_load_dword v72, s[20:23], 0 offen lds               // 0000000046B8: E0511000 80050048
	s_add_u32 m0, 0xb00, s49                                   // 0000000046C0: 807C31FF 00000B00
	v_mfma_f32_16x16x32_fp8_fp8 v[100:103], a[148:149], a[44:45], v[100:103]// 0000000046C8: D3F30064 1D925994
	v_mfma_f32_16x16x32_fp8_fp8 v[100:103], a[150:151], a[46:47], v[100:103]// 0000000046D0: D3F30064 1D925D96
	buffer_load_dword v73, s[20:23], 0 offen lds               // 0000000046D8: E0511000 80050049
	s_add_u32 m0, 0xc00, s49                                   // 0000000046E0: 807C31FF 00000C00
	v_mfma_f32_16x16x32_fp8_fp8 v[132:135], a[152:153], a[40:41], v[132:135]// 0000000046E8: D3F30084 1E125198
	v_mfma_f32_16x16x32_fp8_fp8 v[132:135], a[154:155], a[42:43], v[132:135]// 0000000046F0: D3F30084 1E12559A
	buffer_load_dword v74, s[20:23], 0 offen lds               // 0000000046F8: E0511000 8005004A
	s_add_u32 m0, 0xd00, s49                                   // 000000004700: 807C31FF 00000D00
	v_mfma_f32_16x16x32_fp8_fp8 v[132:135], a[156:157], a[44:45], v[132:135]// 000000004708: D3F30084 1E12599C
	v_mfma_f32_16x16x32_fp8_fp8 v[132:135], a[158:159], a[46:47], v[132:135]// 000000004710: D3F30084 1E125D9E
	buffer_load_dword v75, s[20:23], 0 offen lds               // 000000004718: E0511000 8005004B
	s_add_u32 m0, 0xe00, s49                                   // 000000004720: 807C31FF 00000E00
	v_mfma_f32_16x16x32_fp8_fp8 v[104:107], a[144:145], a[48:49], v[104:107]// 000000004728: D3F30068 1DA26190
	v_mfma_f32_16x16x32_fp8_fp8 v[104:107], a[146:147], a[50:51], v[104:107]// 000000004730: D3F30068 1DA26592
	v_mfma_f32_16x16x32_fp8_fp8 v[104:107], a[148:149], a[52:53], v[104:107]// 000000004738: D3F30068 1DA26994
	v_mfma_f32_16x16x32_fp8_fp8 v[104:107], a[150:151], a[54:55], v[104:107]// 000000004740: D3F30068 1DA26D96
	v_mfma_f32_16x16x32_fp8_fp8 v[136:139], a[152:153], a[48:49], v[136:139]// 000000004748: D3F30088 1E226198
	v_mfma_f32_16x16x32_fp8_fp8 v[136:139], a[154:155], a[50:51], v[136:139]// 000000004750: D3F30088 1E22659A
	v_mfma_f32_16x16x32_fp8_fp8 v[136:139], a[156:157], a[52:53], v[136:139]// 000000004758: D3F30088 1E22699C
	v_mfma_f32_16x16x32_fp8_fp8 v[136:139], a[158:159], a[54:55], v[136:139]// 000000004760: D3F30088 1E226D9E
	v_mfma_f32_16x16x32_fp8_fp8 v[108:111], a[144:145], a[56:57], v[108:111]// 000000004768: D3F3006C 1DB27190
	v_mfma_f32_16x16x32_fp8_fp8 v[108:111], a[146:147], a[58:59], v[108:111]// 000000004770: D3F3006C 1DB27592
	buffer_load_dword v76, s[20:23], 0 offen lds               // 000000004778: E0511000 8005004C
	s_add_u32 m0, 0xf00, s49                                   // 000000004780: 807C31FF 00000F00
	v_mfma_f32_16x16x32_fp8_fp8 v[108:111], a[148:149], a[60:61], v[108:111]// 000000004788: D3F3006C 1DB27994
	v_mfma_f32_16x16x32_fp8_fp8 v[108:111], a[150:151], a[62:63], v[108:111]// 000000004790: D3F3006C 1DB27D96
	buffer_load_dword v77, s[20:23], 0 offen lds               // 000000004798: E0511000 8005004D
	s_add_u32 m0, 0, s50                                       // 0000000047A0: 807C3280
	v_mfma_f32_16x16x32_fp8_fp8 v[140:143], a[152:153], a[56:57], v[140:143]// 0000000047A4: D3F3008C 1E327198
	v_mfma_f32_16x16x32_fp8_fp8 v[140:143], a[154:155], a[58:59], v[140:143]// 0000000047AC: D3F3008C 1E32759A
	v_mfma_f32_16x16x32_fp8_fp8 v[140:143], a[156:157], a[60:61], v[140:143]// 0000000047B4: D3F3008C 1E32799C
	v_mfma_f32_16x16x32_fp8_fp8 v[140:143], a[158:159], a[62:63], v[140:143]// 0000000047BC: D3F3008C 1E327D9E
	s_waitcnt vmcnt(20)                                        // 0000000047C4: BF8C4F74
	s_barrier                                                  // 0000000047C8: BF8A0000
	v_mfma_f32_16x16x32_fp8_fp8 v[144:147], a[160:161], a[0:1], v[144:147]// 0000000047CC: D3F30090 1E4201A0
	v_mfma_f32_16x16x32_fp8_fp8 v[144:147], a[162:163], a[2:3], v[144:147]// 0000000047D4: D3F30090 1E4205A2
	buffer_load_dwordx4 a[144:147], v78, s[84:87], 0 offen     // 0000000047DC: E05C1000 8095904E
	v_mfma_f32_16x16x32_fp8_fp8 v[144:147], a[164:165], a[4:5], v[144:147]// 0000000047E4: D3F30090 1E4209A4
	v_mfma_f32_16x16x32_fp8_fp8 v[144:147], a[166:167], a[6:7], v[144:147]// 0000000047EC: D3F30090 1E420DA6
	ds_read_b128 a[64:67], v2                                  // 0000000047F4: DBFE0000 40000002
	ds_read_b128 a[68:71], v2 offset:64                        // 0000000047FC: DBFE0040 44000002
	v_mfma_f32_16x16x32_fp8_fp8 v[176:179], a[168:169], a[0:1], v[176:179]// 000000004804: D3F300B0 1EC201A8
	v_mfma_f32_16x16x32_fp8_fp8 v[176:179], a[170:171], a[2:3], v[176:179]// 00000000480C: D3F300B0 1EC205AA
	buffer_load_dwordx4 a[148:151], v78, s[84:87], 0 offen offset:1024// 000000004814: E05C1400 8095944E
	v_mfma_f32_16x16x32_fp8_fp8 v[176:179], a[172:173], a[4:5], v[176:179]// 00000000481C: D3F300B0 1EC209AC
	v_mfma_f32_16x16x32_fp8_fp8 v[176:179], a[174:175], a[6:7], v[176:179]// 000000004824: D3F300B0 1EC20DAE
	ds_read_b128 a[72:75], v2 offset:512                       // 00000000482C: DBFE0200 48000002
	ds_read_b128 a[76:79], v2 offset:576                       // 000000004834: DBFE0240 4C000002
	v_mfma_f32_16x16x32_fp8_fp8 v[148:151], a[160:161], a[8:9], v[148:151]// 00000000483C: D3F30094 1E5211A0
	v_mfma_f32_16x16x32_fp8_fp8 v[148:151], a[162:163], a[10:11], v[148:151]// 000000004844: D3F30094 1E5215A2
	buffer_load_dwordx4 a[152:155], v79, s[84:87], 0 offen     // 00000000484C: E05C1000 8095984F
	v_mfma_f32_16x16x32_fp8_fp8 v[148:151], a[164:165], a[12:13], v[148:151]// 000000004854: D3F30094 1E5219A4
	v_mfma_f32_16x16x32_fp8_fp8 v[148:151], a[166:167], a[14:15], v[148:151]// 00000000485C: D3F30094 1E521DA6
	ds_read_b128 a[80:83], v2 offset:1024                      // 000000004864: DBFE0400 50000002
	ds_read_b128 a[84:87], v2 offset:1088                      // 00000000486C: DBFE0440 54000002
	v_mfma_f32_16x16x32_fp8_fp8 v[180:183], a[168:169], a[8:9], v[180:183]// 000000004874: D3F300B4 1ED211A8
	v_mfma_f32_16x16x32_fp8_fp8 v[180:183], a[170:171], a[10:11], v[180:183]// 00000000487C: D3F300B4 1ED215AA
	buffer_load_dwordx4 a[156:159], v79, s[84:87], 0 offen offset:1024// 000000004884: E05C1400 80959C4F
	v_mfma_f32_16x16x32_fp8_fp8 v[180:183], a[172:173], a[12:13], v[180:183]// 00000000488C: D3F300B4 1ED219AC
	v_mfma_f32_16x16x32_fp8_fp8 v[180:183], a[174:175], a[14:15], v[180:183]// 000000004894: D3F300B4 1ED21DAE
	ds_read_b128 a[88:91], v2 offset:1536                      // 00000000489C: DBFE0600 58000002
	ds_read_b128 a[92:95], v2 offset:1600                      // 0000000048A4: DBFE0640 5C000002
	v_mfma_f32_16x16x32_fp8_fp8 v[152:155], a[160:161], a[16:17], v[152:155]// 0000000048AC: D3F30098 1E6221A0
	v_mfma_f32_16x16x32_fp8_fp8 v[152:155], a[162:163], a[18:19], v[152:155]// 0000000048B4: D3F30098 1E6225A2
	v_mfma_f32_16x16x32_fp8_fp8 v[152:155], a[164:165], a[20:21], v[152:155]// 0000000048BC: D3F30098 1E6229A4
	v_mfma_f32_16x16x32_fp8_fp8 v[152:155], a[166:167], a[22:23], v[152:155]// 0000000048C4: D3F30098 1E622DA6
	ds_read_b128 a[96:99], v2 offset:2048                      // 0000000048CC: DBFE0800 60000002
	ds_read_b128 a[100:103], v2 offset:2112                    // 0000000048D4: DBFE0840 64000002
	v_mfma_f32_16x16x32_fp8_fp8 v[184:187], a[168:169], a[16:17], v[184:187]// 0000000048DC: D3F300B8 1EE221A8
	v_mfma_f32_16x16x32_fp8_fp8 v[184:187], a[170:171], a[18:19], v[184:187]// 0000000048E4: D3F300B8 1EE225AA
	v_mfma_f32_16x16x32_fp8_fp8 v[184:187], a[172:173], a[20:21], v[184:187]// 0000000048EC: D3F300B8 1EE229AC
	v_mfma_f32_16x16x32_fp8_fp8 v[184:187], a[174:175], a[22:23], v[184:187]// 0000000048F4: D3F300B8 1EE22DAE
	ds_read_b128 a[104:107], v2 offset:2560                    // 0000000048FC: DBFE0A00 68000002
	ds_read_b128 a[108:111], v2 offset:2624                    // 000000004904: DBFE0A40 6C000002
	v_mfma_f32_16x16x32_fp8_fp8 v[156:159], a[160:161], a[24:25], v[156:159]// 00000000490C: D3F3009C 1E7231A0
	v_mfma_f32_16x16x32_fp8_fp8 v[156:159], a[162:163], a[26:27], v[156:159]// 000000004914: D3F3009C 1E7235A2
	v_mfma_f32_16x16x32_fp8_fp8 v[156:159], a[164:165], a[28:29], v[156:159]// 00000000491C: D3F3009C 1E7239A4
	v_mfma_f32_16x16x32_fp8_fp8 v[156:159], a[166:167], a[30:31], v[156:159]// 000000004924: D3F3009C 1E723DA6
	ds_read_b128 a[112:115], v2 offset:3072                    // 00000000492C: DBFE0C00 70000002
	ds_read_b128 a[116:119], v2 offset:3136                    // 000000004934: DBFE0C40 74000002
	v_mfma_f32_16x16x32_fp8_fp8 v[188:191], a[168:169], a[24:25], v[188:191]// 00000000493C: D3F300BC 1EF231A8
	v_mfma_f32_16x16x32_fp8_fp8 v[188:191], a[170:171], a[26:27], v[188:191]// 000000004944: D3F300BC 1EF235AA
	v_mfma_f32_16x16x32_fp8_fp8 v[188:191], a[172:173], a[28:29], v[188:191]// 00000000494C: D3F300BC 1EF239AC
	v_mfma_f32_16x16x32_fp8_fp8 v[188:191], a[174:175], a[30:31], v[188:191]// 000000004954: D3F300BC 1EF23DAE
	ds_read_b128 a[120:123], v2 offset:3584                    // 00000000495C: DBFE0E00 78000002
	ds_read_b128 a[124:127], v2 offset:3648                    // 000000004964: DBFE0E40 7C000002
	v_mfma_f32_16x16x32_fp8_fp8 v[160:163], a[160:161], a[32:33], v[160:163]// 00000000496C: D3F300A0 1E8241A0
	v_mfma_f32_16x16x32_fp8_fp8 v[160:163], a[162:163], a[34:35], v[160:163]// 000000004974: D3F300A0 1E8245A2
	v_mfma_f32_16x16x32_fp8_fp8 v[160:163], a[164:165], a[36:37], v[160:163]// 00000000497C: D3F300A0 1E8249A4
	v_mfma_f32_16x16x32_fp8_fp8 v[160:163], a[166:167], a[38:39], v[160:163]// 000000004984: D3F300A0 1E824DA6
	v_mfma_f32_16x16x32_fp8_fp8 v[192:195], a[168:169], a[32:33], v[192:195]// 00000000498C: D3F300C0 1F0241A8
	v_mfma_f32_16x16x32_fp8_fp8 v[192:195], a[170:171], a[34:35], v[192:195]// 000000004994: D3F300C0 1F0245AA
	v_mfma_f32_16x16x32_fp8_fp8 v[192:195], a[172:173], a[36:37], v[192:195]// 00000000499C: D3F300C0 1F0249AC
	v_mfma_f32_16x16x32_fp8_fp8 v[192:195], a[174:175], a[38:39], v[192:195]// 0000000049A4: D3F300C0 1F024DAE
	v_mfma_f32_16x16x32_fp8_fp8 v[164:167], a[160:161], a[40:41], v[164:167]// 0000000049AC: D3F300A4 1E9251A0
	v_mfma_f32_16x16x32_fp8_fp8 v[164:167], a[162:163], a[42:43], v[164:167]// 0000000049B4: D3F300A4 1E9255A2
	v_mfma_f32_16x16x32_fp8_fp8 v[164:167], a[164:165], a[44:45], v[164:167]// 0000000049BC: D3F300A4 1E9259A4
	v_mfma_f32_16x16x32_fp8_fp8 v[164:167], a[166:167], a[46:47], v[164:167]// 0000000049C4: D3F300A4 1E925DA6
	v_mfma_f32_16x16x32_fp8_fp8 v[196:199], a[168:169], a[40:41], v[196:199]// 0000000049CC: D3F300C4 1F1251A8
	v_mfma_f32_16x16x32_fp8_fp8 v[196:199], a[170:171], a[42:43], v[196:199]// 0000000049D4: D3F300C4 1F1255AA
	v_mfma_f32_16x16x32_fp8_fp8 v[196:199], a[172:173], a[44:45], v[196:199]// 0000000049DC: D3F300C4 1F1259AC
	v_mfma_f32_16x16x32_fp8_fp8 v[196:199], a[174:175], a[46:47], v[196:199]// 0000000049E4: D3F300C4 1F125DAE
	v_mfma_f32_16x16x32_fp8_fp8 v[168:171], a[160:161], a[48:49], v[168:171]// 0000000049EC: D3F300A8 1EA261A0
	v_mfma_f32_16x16x32_fp8_fp8 v[168:171], a[162:163], a[50:51], v[168:171]// 0000000049F4: D3F300A8 1EA265A2
	v_mfma_f32_16x16x32_fp8_fp8 v[168:171], a[164:165], a[52:53], v[168:171]// 0000000049FC: D3F300A8 1EA269A4
	v_mfma_f32_16x16x32_fp8_fp8 v[168:171], a[166:167], a[54:55], v[168:171]// 000000004A04: D3F300A8 1EA26DA6
	v_mfma_f32_16x16x32_fp8_fp8 v[200:203], a[168:169], a[48:49], v[200:203]// 000000004A0C: D3F300C8 1F2261A8
	v_mfma_f32_16x16x32_fp8_fp8 v[200:203], a[170:171], a[50:51], v[200:203]// 000000004A14: D3F300C8 1F2265AA
	v_mfma_f32_16x16x32_fp8_fp8 v[200:203], a[172:173], a[52:53], v[200:203]// 000000004A1C: D3F300C8 1F2269AC
	v_mfma_f32_16x16x32_fp8_fp8 v[200:203], a[174:175], a[54:55], v[200:203]// 000000004A24: D3F300C8 1F226DAE
	v_mfma_f32_16x16x32_fp8_fp8 v[172:175], a[160:161], a[56:57], v[172:175]// 000000004A2C: D3F300AC 1EB271A0
	s_add_u32 s60, 0x180, s80                                  // 000000004A34: 803C50FF 00000180
	s_cmp_lt_u32 s60, s81                                      // 000000004A3C: BF0A513C
	s_cselect_b32 s57, s57, 0                                  // 000000004A40: 85398039
	v_mfma_f32_16x16x32_fp8_fp8 v[172:175], a[162:163], a[58:59], v[172:175]// 000000004A44: D3F300AC 1EB275A2
	s_add_u32 s60, 0x100, s80                                  // 000000004A4C: 803C50FF 00000100
	s_cmp_lt_u32 s60, s81                                      // 000000004A54: BF0A513C
	s_cselect_b32 s58, s58, 0                                  // 000000004A58: 853A803A
	v_mfma_f32_16x16x32_fp8_fp8 v[172:175], a[164:165], a[60:61], v[172:175]// 000000004A5C: D3F300AC 1EB279A4
	s_add_u32 s60, 0x100, s80                                  // 000000004A64: 803C50FF 00000100
	s_cmp_lt_u32 s60, s81                                      // 000000004A6C: BF0A513C
	s_cselect_b32 s83, s83, 0                                  // 000000004A70: 85538053
	v_mfma_f32_16x16x32_fp8_fp8 v[172:175], a[166:167], a[62:63], v[172:175]// 000000004A74: D3F300AC 1EB27DA6
	s_add_u32 s24, s58, s24                                    // 000000004A7C: 8018183A
	s_addc_u32 s25, 0, s25                                     // 000000004A80: 82191980
	v_mfma_f32_16x16x32_fp8_fp8 v[204:207], a[168:169], a[56:57], v[204:207]// 000000004A84: D3F300CC 1F3271A8
	s_add_u32 s20, s57, s20                                    // 000000004A8C: 80141439
	s_addc_u32 s21, 0, s21                                     // 000000004A90: 82151580
	v_mfma_f32_16x16x32_fp8_fp8 v[204:207], a[170:171], a[58:59], v[204:207]// 000000004A94: D3F300CC 1F3275AA
	s_add_u32 s84, s83, s84                                    // 000000004A9C: 80545453
	s_addc_u32 s85, 0, s85                                     // 000000004AA0: 82555580
	v_mfma_f32_16x16x32_fp8_fp8 v[204:207], a[172:173], a[60:61], v[204:207]// 000000004AA4: D3F300CC 1F3279AC
	v_mfma_f32_16x16x32_fp8_fp8 v[204:207], a[174:175], a[62:63], v[204:207]// 000000004AAC: D3F300CC 1F327DAE
	s_addk_i32 s80, 0x80                                       // 000000004AB4: B7500080
	s_cmp_lt_i32 s80, s81                                      // 000000004AB8: BF045150
	s_cbranch_scc0 label_0CC6                                  // 000000004ABC: BF840496
	s_waitcnt vmcnt(20) lgkmcnt(0)                             // 000000004AC0: BF8C4074
	v_mfma_f32_16x16x32_fp8_fp8 v[80:83], a[128:129], a[64:65], v[80:83]// 000000004AC4: D3F30050 1D428180
	v_mfma_f32_16x16x32_fp8_fp8 v[80:83], a[130:131], a[66:67], v[80:83]// 000000004ACC: D3F30050 1D428582
	buffer_load_dwordx4 a[160:163], v78, s[24:27], 0 offen     // 000000004AD4: E05C1000 8086A04E
	v_mfma_f32_16x16x32_fp8_fp8 v[80:83], a[132:133], a[68:69], v[80:83]// 000000004ADC: D3F30050 1D428984
	v_mfma_f32_16x16x32_fp8_fp8 v[80:83], a[134:135], a[70:71], v[80:83]// 000000004AE4: D3F30050 1D428D86
	v_mfma_f32_16x16x32_fp8_fp8 v[112:115], a[136:137], a[64:65], v[112:115]// 000000004AEC: D3F30070 1DC28188
	v_mfma_f32_16x16x32_fp8_fp8 v[112:115], a[138:139], a[66:67], v[112:115]// 000000004AF4: D3F30070 1DC2858A
	buffer_load_dwordx4 a[164:167], v78, s[24:27], 0 offen offset:1024// 000000004AFC: E05C1400 8086A44E
	v_mfma_f32_16x16x32_fp8_fp8 v[112:115], a[140:141], a[68:69], v[112:115]// 000000004B04: D3F30070 1DC2898C
	v_mfma_f32_16x16x32_fp8_fp8 v[112:115], a[142:143], a[70:71], v[112:115]// 000000004B0C: D3F30070 1DC28D8E
	v_mfma_f32_16x16x32_fp8_fp8 v[84:87], a[128:129], a[72:73], v[84:87]// 000000004B14: D3F30054 1D529180
	v_mfma_f32_16x16x32_fp8_fp8 v[84:87], a[130:131], a[74:75], v[84:87]// 000000004B1C: D3F30054 1D529582
	buffer_load_dwordx4 a[168:171], v79, s[24:27], 0 offen     // 000000004B24: E05C1000 8086A84F
	v_mfma_f32_16x16x32_fp8_fp8 v[84:87], a[132:133], a[76:77], v[84:87]// 000000004B2C: D3F30054 1D529984
	v_mfma_f32_16x16x32_fp8_fp8 v[84:87], a[134:135], a[78:79], v[84:87]// 000000004B34: D3F30054 1D529D86
	v_mfma_f32_16x16x32_fp8_fp8 v[116:119], a[136:137], a[72:73], v[116:119]// 000000004B3C: D3F30074 1DD29188
	v_mfma_f32_16x16x32_fp8_fp8 v[116:119], a[138:139], a[74:75], v[116:119]// 000000004B44: D3F30074 1DD2958A
	buffer_load_dwordx4 a[172:175], v79, s[24:27], 0 offen offset:1024// 000000004B4C: E05C1400 8086AC4F
	buffer_load_dword v62, s[20:23], 0 offen lds               // 000000004B54: E0511000 8005003E
	s_add_u32 m0, 0x100, s50                                   // 000000004B5C: 807C32FF 00000100
	v_mfma_f32_16x16x32_fp8_fp8 v[116:119], a[140:141], a[76:77], v[116:119]// 000000004B64: D3F30074 1DD2998C
	v_mfma_f32_16x16x32_fp8_fp8 v[116:119], a[142:143], a[78:79], v[116:119]// 000000004B6C: D3F30074 1DD29D8E
	buffer_load_dword v63, s[20:23], 0 offen lds               // 000000004B74: E0511000 8005003F
	s_add_u32 m0, 0x200, s50                                   // 000000004B7C: 807C32FF 00000200
	v_mfma_f32_16x16x32_fp8_fp8 v[88:91], a[128:129], a[80:81], v[88:91]// 000000004B84: D3F30058 1D62A180
	v_mfma_f32_16x16x32_fp8_fp8 v[88:91], a[130:131], a[82:83], v[88:91]// 000000004B8C: D3F30058 1D62A582
	buffer_load_dword v64, s[20:23], 0 offen lds               // 000000004B94: E0511000 80050040
	s_add_u32 m0, 0x300, s50                                   // 000000004B9C: 807C32FF 00000300
	v_mfma_f32_16x16x32_fp8_fp8 v[88:91], a[132:133], a[84:85], v[88:91]// 000000004BA4: D3F30058 1D62A984
	v_mfma_f32_16x16x32_fp8_fp8 v[88:91], a[134:135], a[86:87], v[88:91]// 000000004BAC: D3F30058 1D62AD86
	buffer_load_dword v65, s[20:23], 0 offen lds               // 000000004BB4: E0511000 80050041
	s_add_u32 m0, 0x400, s50                                   // 000000004BBC: 807C32FF 00000400
	v_mfma_f32_16x16x32_fp8_fp8 v[120:123], a[136:137], a[80:81], v[120:123]// 000000004BC4: D3F30078 1DE2A188
	v_mfma_f32_16x16x32_fp8_fp8 v[120:123], a[138:139], a[82:83], v[120:123]// 000000004BCC: D3F30078 1DE2A58A
	buffer_load_dword v66, s[20:23], 0 offen lds               // 000000004BD4: E0511000 80050042
	s_add_u32 m0, 0x500, s50                                   // 000000004BDC: 807C32FF 00000500
	v_mfma_f32_16x16x32_fp8_fp8 v[120:123], a[140:141], a[84:85], v[120:123]// 000000004BE4: D3F30078 1DE2A98C
	v_mfma_f32_16x16x32_fp8_fp8 v[120:123], a[142:143], a[86:87], v[120:123]// 000000004BEC: D3F30078 1DE2AD8E
	buffer_load_dword v67, s[20:23], 0 offen lds               // 000000004BF4: E0511000 80050043
	s_add_u32 m0, 0x600, s50                                   // 000000004BFC: 807C32FF 00000600
	v_mfma_f32_16x16x32_fp8_fp8 v[92:95], a[128:129], a[88:89], v[92:95]// 000000004C04: D3F3005C 1D72B180
	v_mfma_f32_16x16x32_fp8_fp8 v[92:95], a[130:131], a[90:91], v[92:95]// 000000004C0C: D3F3005C 1D72B582
	buffer_load_dword v68, s[20:23], 0 offen lds               // 000000004C14: E0511000 80050044
	s_add_u32 m0, 0x700, s50                                   // 000000004C1C: 807C32FF 00000700
	v_mfma_f32_16x16x32_fp8_fp8 v[92:95], a[132:133], a[92:93], v[92:95]// 000000004C24: D3F3005C 1D72B984
	v_mfma_f32_16x16x32_fp8_fp8 v[92:95], a[134:135], a[94:95], v[92:95]// 000000004C2C: D3F3005C 1D72BD86
	buffer_load_dword v69, s[20:23], 0 offen lds               // 000000004C34: E0511000 80050045
	s_add_u32 m0, 0x800, s50                                   // 000000004C3C: 807C32FF 00000800
	v_mfma_f32_16x16x32_fp8_fp8 v[124:127], a[136:137], a[88:89], v[124:127]// 000000004C44: D3F3007C 1DF2B188
	v_mfma_f32_16x16x32_fp8_fp8 v[124:127], a[138:139], a[90:91], v[124:127]// 000000004C4C: D3F3007C 1DF2B58A
	buffer_load_dword v70, s[20:23], 0 offen lds               // 000000004C54: E0511000 80050046
	s_add_u32 m0, 0x900, s50                                   // 000000004C5C: 807C32FF 00000900
	v_mfma_f32_16x16x32_fp8_fp8 v[124:127], a[140:141], a[92:93], v[124:127]// 000000004C64: D3F3007C 1DF2B98C
	v_mfma_f32_16x16x32_fp8_fp8 v[124:127], a[142:143], a[94:95], v[124:127]// 000000004C6C: D3F3007C 1DF2BD8E
	buffer_load_dword v71, s[20:23], 0 offen lds               // 000000004C74: E0511000 80050047
	s_add_u32 m0, 0xa00, s50                                   // 000000004C7C: 807C32FF 00000A00
	v_mfma_f32_16x16x32_fp8_fp8 v[96:99], a[128:129], a[96:97], v[96:99]// 000000004C84: D3F30060 1D82C180
	v_mfma_f32_16x16x32_fp8_fp8 v[96:99], a[130:131], a[98:99], v[96:99]// 000000004C8C: D3F30060 1D82C582
	v_mfma_f32_16x16x32_fp8_fp8 v[96:99], a[132:133], a[100:101], v[96:99]// 000000004C94: D3F30060 1D82C984
	v_mfma_f32_16x16x32_fp8_fp8 v[96:99], a[134:135], a[102:103], v[96:99]// 000000004C9C: D3F30060 1D82CD86
	v_mfma_f32_16x16x32_fp8_fp8 v[128:131], a[136:137], a[96:97], v[128:131]// 000000004CA4: D3F30080 1E02C188
	v_mfma_f32_16x16x32_fp8_fp8 v[128:131], a[138:139], a[98:99], v[128:131]// 000000004CAC: D3F30080 1E02C58A
	v_mfma_f32_16x16x32_fp8_fp8 v[128:131], a[140:141], a[100:101], v[128:131]// 000000004CB4: D3F30080 1E02C98C
	v_mfma_f32_16x16x32_fp8_fp8 v[128:131], a[142:143], a[102:103], v[128:131]// 000000004CBC: D3F30080 1E02CD8E
	v_mfma_f32_16x16x32_fp8_fp8 v[100:103], a[128:129], a[104:105], v[100:103]// 000000004CC4: D3F30064 1D92D180
	v_mfma_f32_16x16x32_fp8_fp8 v[100:103], a[130:131], a[106:107], v[100:103]// 000000004CCC: D3F30064 1D92D582
	buffer_load_dword v72, s[20:23], 0 offen lds               // 000000004CD4: E0511000 80050048
	s_add_u32 m0, 0xb00, s50                                   // 000000004CDC: 807C32FF 00000B00
	v_mfma_f32_16x16x32_fp8_fp8 v[100:103], a[132:133], a[108:109], v[100:103]// 000000004CE4: D3F30064 1D92D984
	v_mfma_f32_16x16x32_fp8_fp8 v[100:103], a[134:135], a[110:111], v[100:103]// 000000004CEC: D3F30064 1D92DD86
	buffer_load_dword v73, s[20:23], 0 offen lds               // 000000004CF4: E0511000 80050049
	s_add_u32 m0, 0xc00, s50                                   // 000000004CFC: 807C32FF 00000C00
	v_mfma_f32_16x16x32_fp8_fp8 v[132:135], a[136:137], a[104:105], v[132:135]// 000000004D04: D3F30084 1E12D188
	v_mfma_f32_16x16x32_fp8_fp8 v[132:135], a[138:139], a[106:107], v[132:135]// 000000004D0C: D3F30084 1E12D58A
	buffer_load_dword v74, s[20:23], 0 offen lds               // 000000004D14: E0511000 8005004A
	s_add_u32 m0, 0xd00, s50                                   // 000000004D1C: 807C32FF 00000D00
	v_mfma_f32_16x16x32_fp8_fp8 v[132:135], a[140:141], a[108:109], v[132:135]// 000000004D24: D3F30084 1E12D98C
	v_mfma_f32_16x16x32_fp8_fp8 v[132:135], a[142:143], a[110:111], v[132:135]// 000000004D2C: D3F30084 1E12DD8E
	buffer_load_dword v75, s[20:23], 0 offen lds               // 000000004D34: E0511000 8005004B
	s_add_u32 m0, 0xe00, s50                                   // 000000004D3C: 807C32FF 00000E00
	v_mfma_f32_16x16x32_fp8_fp8 v[104:107], a[128:129], a[112:113], v[104:107]// 000000004D44: D3F30068 1DA2E180
	v_mfma_f32_16x16x32_fp8_fp8 v[104:107], a[130:131], a[114:115], v[104:107]// 000000004D4C: D3F30068 1DA2E582
	v_mfma_f32_16x16x32_fp8_fp8 v[104:107], a[132:133], a[116:117], v[104:107]// 000000004D54: D3F30068 1DA2E984
	v_mfma_f32_16x16x32_fp8_fp8 v[104:107], a[134:135], a[118:119], v[104:107]// 000000004D5C: D3F30068 1DA2ED86
	v_mfma_f32_16x16x32_fp8_fp8 v[136:139], a[136:137], a[112:113], v[136:139]// 000000004D64: D3F30088 1E22E188
	v_mfma_f32_16x16x32_fp8_fp8 v[136:139], a[138:139], a[114:115], v[136:139]// 000000004D6C: D3F30088 1E22E58A
	v_mfma_f32_16x16x32_fp8_fp8 v[136:139], a[140:141], a[116:117], v[136:139]// 000000004D74: D3F30088 1E22E98C
	v_mfma_f32_16x16x32_fp8_fp8 v[136:139], a[142:143], a[118:119], v[136:139]// 000000004D7C: D3F30088 1E22ED8E
	v_mfma_f32_16x16x32_fp8_fp8 v[108:111], a[128:129], a[120:121], v[108:111]// 000000004D84: D3F3006C 1DB2F180
	v_mfma_f32_16x16x32_fp8_fp8 v[108:111], a[130:131], a[122:123], v[108:111]// 000000004D8C: D3F3006C 1DB2F582
	buffer_load_dword v76, s[20:23], 0 offen lds               // 000000004D94: E0511000 8005004C
	s_add_u32 m0, 0xf00, s50                                   // 000000004D9C: 807C32FF 00000F00
	v_mfma_f32_16x16x32_fp8_fp8 v[108:111], a[132:133], a[124:125], v[108:111]// 000000004DA4: D3F3006C 1DB2F984
	v_mfma_f32_16x16x32_fp8_fp8 v[108:111], a[134:135], a[126:127], v[108:111]// 000000004DAC: D3F3006C 1DB2FD86
	buffer_load_dword v77, s[20:23], 0 offen lds               // 000000004DB4: E0511000 8005004D
	s_add_u32 m0, 0, s48                                       // 000000004DBC: 807C3080
	v_mfma_f32_16x16x32_fp8_fp8 v[140:143], a[136:137], a[120:121], v[140:143]// 000000004DC0: D3F3008C 1E32F188
	v_mfma_f32_16x16x32_fp8_fp8 v[140:143], a[138:139], a[122:123], v[140:143]// 000000004DC8: D3F3008C 1E32F58A
	v_mfma_f32_16x16x32_fp8_fp8 v[140:143], a[140:141], a[124:125], v[140:143]// 000000004DD0: D3F3008C 1E32F98C
	v_mfma_f32_16x16x32_fp8_fp8 v[140:143], a[142:143], a[126:127], v[140:143]// 000000004DD8: D3F3008C 1E32FD8E
	s_waitcnt vmcnt(20)                                        // 000000004DE0: BF8C4F74
	s_barrier                                                  // 000000004DE4: BF8A0000
	v_mfma_f32_16x16x32_fp8_fp8 v[144:147], a[144:145], a[64:65], v[144:147]// 000000004DE8: D3F30090 1E428190
	v_mfma_f32_16x16x32_fp8_fp8 v[144:147], a[146:147], a[66:67], v[144:147]// 000000004DF0: D3F30090 1E428592
	buffer_load_dwordx4 a[128:131], v78, s[84:87], 0 offen     // 000000004DF8: E05C1000 8095804E
	v_mfma_f32_16x16x32_fp8_fp8 v[144:147], a[148:149], a[68:69], v[144:147]// 000000004E00: D3F30090 1E428994
	v_mfma_f32_16x16x32_fp8_fp8 v[144:147], a[150:151], a[70:71], v[144:147]// 000000004E08: D3F30090 1E428D96
	ds_read_b128 a[0:3], v2 offset:16512                       // 000000004E10: DBFE4080 00000002
	ds_read_b128 a[4:7], v2 offset:16576                       // 000000004E18: DBFE40C0 04000002
	v_mfma_f32_16x16x32_fp8_fp8 v[176:179], a[152:153], a[64:65], v[176:179]// 000000004E20: D3F300B0 1EC28198
	v_mfma_f32_16x16x32_fp8_fp8 v[176:179], a[154:155], a[66:67], v[176:179]// 000000004E28: D3F300B0 1EC2859A
	buffer_load_dwordx4 a[132:135], v78, s[84:87], 0 offen offset:1024// 000000004E30: E05C1400 8095844E
	v_mfma_f32_16x16x32_fp8_fp8 v[176:179], a[156:157], a[68:69], v[176:179]// 000000004E38: D3F300B0 1EC2899C
	v_mfma_f32_16x16x32_fp8_fp8 v[176:179], a[158:159], a[70:71], v[176:179]// 000000004E40: D3F300B0 1EC28D9E
	ds_read_b128 a[8:11], v2 offset:17024                      // 000000004E48: DBFE4280 08000002
	ds_read_b128 a[12:15], v2 offset:17088                     // 000000004E50: DBFE42C0 0C000002
	v_mfma_f32_16x16x32_fp8_fp8 v[148:151], a[144:145], a[72:73], v[148:151]// 000000004E58: D3F30094 1E529190
	v_mfma_f32_16x16x32_fp8_fp8 v[148:151], a[146:147], a[74:75], v[148:151]// 000000004E60: D3F30094 1E529592
	buffer_load_dwordx4 a[136:139], v79, s[84:87], 0 offen     // 000000004E68: E05C1000 8095884F
	v_mfma_f32_16x16x32_fp8_fp8 v[148:151], a[148:149], a[76:77], v[148:151]// 000000004E70: D3F30094 1E529994
	v_mfma_f32_16x16x32_fp8_fp8 v[148:151], a[150:151], a[78:79], v[148:151]// 000000004E78: D3F30094 1E529D96
	ds_read_b128 a[16:19], v2 offset:17536                     // 000000004E80: DBFE4480 10000002
	ds_read_b128 a[20:23], v2 offset:17600                     // 000000004E88: DBFE44C0 14000002
	v_mfma_f32_16x16x32_fp8_fp8 v[180:183], a[152:153], a[72:73], v[180:183]// 000000004E90: D3F300B4 1ED29198
	v_mfma_f32_16x16x32_fp8_fp8 v[180:183], a[154:155], a[74:75], v[180:183]// 000000004E98: D3F300B4 1ED2959A
	buffer_load_dwordx4 a[140:143], v79, s[84:87], 0 offen offset:1024// 000000004EA0: E05C1400 80958C4F
	v_mfma_f32_16x16x32_fp8_fp8 v[180:183], a[156:157], a[76:77], v[180:183]// 000000004EA8: D3F300B4 1ED2999C
	v_mfma_f32_16x16x32_fp8_fp8 v[180:183], a[158:159], a[78:79], v[180:183]// 000000004EB0: D3F300B4 1ED29D9E
	ds_read_b128 a[24:27], v2 offset:18048                     // 000000004EB8: DBFE4680 18000002
	ds_read_b128 a[28:31], v2 offset:18112                     // 000000004EC0: DBFE46C0 1C000002
	v_mfma_f32_16x16x32_fp8_fp8 v[152:155], a[144:145], a[80:81], v[152:155]// 000000004EC8: D3F30098 1E62A190
	v_mfma_f32_16x16x32_fp8_fp8 v[152:155], a[146:147], a[82:83], v[152:155]// 000000004ED0: D3F30098 1E62A592
	v_mfma_f32_16x16x32_fp8_fp8 v[152:155], a[148:149], a[84:85], v[152:155]// 000000004ED8: D3F30098 1E62A994
	v_mfma_f32_16x16x32_fp8_fp8 v[152:155], a[150:151], a[86:87], v[152:155]// 000000004EE0: D3F30098 1E62AD96
	ds_read_b128 a[32:35], v2 offset:18560                     // 000000004EE8: DBFE4880 20000002
	ds_read_b128 a[36:39], v2 offset:18624                     // 000000004EF0: DBFE48C0 24000002
	v_mfma_f32_16x16x32_fp8_fp8 v[184:187], a[152:153], a[80:81], v[184:187]// 000000004EF8: D3F300B8 1EE2A198
	v_mfma_f32_16x16x32_fp8_fp8 v[184:187], a[154:155], a[82:83], v[184:187]// 000000004F00: D3F300B8 1EE2A59A
	v_mfma_f32_16x16x32_fp8_fp8 v[184:187], a[156:157], a[84:85], v[184:187]// 000000004F08: D3F300B8 1EE2A99C
	v_mfma_f32_16x16x32_fp8_fp8 v[184:187], a[158:159], a[86:87], v[184:187]// 000000004F10: D3F300B8 1EE2AD9E
	ds_read_b128 a[40:43], v2 offset:19072                     // 000000004F18: DBFE4A80 28000002
	ds_read_b128 a[44:47], v2 offset:19136                     // 000000004F20: DBFE4AC0 2C000002
	v_mfma_f32_16x16x32_fp8_fp8 v[156:159], a[144:145], a[88:89], v[156:159]// 000000004F28: D3F3009C 1E72B190
	v_mfma_f32_16x16x32_fp8_fp8 v[156:159], a[146:147], a[90:91], v[156:159]// 000000004F30: D3F3009C 1E72B592
	v_mfma_f32_16x16x32_fp8_fp8 v[156:159], a[148:149], a[92:93], v[156:159]// 000000004F38: D3F3009C 1E72B994
	v_mfma_f32_16x16x32_fp8_fp8 v[156:159], a[150:151], a[94:95], v[156:159]// 000000004F40: D3F3009C 1E72BD96
	ds_read_b128 a[48:51], v2 offset:19584                     // 000000004F48: DBFE4C80 30000002
	ds_read_b128 a[52:55], v2 offset:19648                     // 000000004F50: DBFE4CC0 34000002
	v_mfma_f32_16x16x32_fp8_fp8 v[188:191], a[152:153], a[88:89], v[188:191]// 000000004F58: D3F300BC 1EF2B198
	v_mfma_f32_16x16x32_fp8_fp8 v[188:191], a[154:155], a[90:91], v[188:191]// 000000004F60: D3F300BC 1EF2B59A
	v_mfma_f32_16x16x32_fp8_fp8 v[188:191], a[156:157], a[92:93], v[188:191]// 000000004F68: D3F300BC 1EF2B99C
	v_mfma_f32_16x16x32_fp8_fp8 v[188:191], a[158:159], a[94:95], v[188:191]// 000000004F70: D3F300BC 1EF2BD9E
	ds_read_b128 a[56:59], v2 offset:20096                     // 000000004F78: DBFE4E80 38000002
	ds_read_b128 a[60:63], v2 offset:20160                     // 000000004F80: DBFE4EC0 3C000002
	v_mfma_f32_16x16x32_fp8_fp8 v[160:163], a[144:145], a[96:97], v[160:163]// 000000004F88: D3F300A0 1E82C190
	v_mfma_f32_16x16x32_fp8_fp8 v[160:163], a[146:147], a[98:99], v[160:163]// 000000004F90: D3F300A0 1E82C592
	v_mfma_f32_16x16x32_fp8_fp8 v[160:163], a[148:149], a[100:101], v[160:163]// 000000004F98: D3F300A0 1E82C994
	v_mfma_f32_16x16x32_fp8_fp8 v[160:163], a[150:151], a[102:103], v[160:163]// 000000004FA0: D3F300A0 1E82CD96
	v_mfma_f32_16x16x32_fp8_fp8 v[192:195], a[152:153], a[96:97], v[192:195]// 000000004FA8: D3F300C0 1F02C198
	v_mfma_f32_16x16x32_fp8_fp8 v[192:195], a[154:155], a[98:99], v[192:195]// 000000004FB0: D3F300C0 1F02C59A
	v_mfma_f32_16x16x32_fp8_fp8 v[192:195], a[156:157], a[100:101], v[192:195]// 000000004FB8: D3F300C0 1F02C99C
	v_mfma_f32_16x16x32_fp8_fp8 v[192:195], a[158:159], a[102:103], v[192:195]// 000000004FC0: D3F300C0 1F02CD9E
	v_mfma_f32_16x16x32_fp8_fp8 v[164:167], a[144:145], a[104:105], v[164:167]// 000000004FC8: D3F300A4 1E92D190
	v_mfma_f32_16x16x32_fp8_fp8 v[164:167], a[146:147], a[106:107], v[164:167]// 000000004FD0: D3F300A4 1E92D592
	v_mfma_f32_16x16x32_fp8_fp8 v[164:167], a[148:149], a[108:109], v[164:167]// 000000004FD8: D3F300A4 1E92D994
	v_mfma_f32_16x16x32_fp8_fp8 v[164:167], a[150:151], a[110:111], v[164:167]// 000000004FE0: D3F300A4 1E92DD96
	v_mfma_f32_16x16x32_fp8_fp8 v[196:199], a[152:153], a[104:105], v[196:199]// 000000004FE8: D3F300C4 1F12D198
	v_mfma_f32_16x16x32_fp8_fp8 v[196:199], a[154:155], a[106:107], v[196:199]// 000000004FF0: D3F300C4 1F12D59A
	v_mfma_f32_16x16x32_fp8_fp8 v[196:199], a[156:157], a[108:109], v[196:199]// 000000004FF8: D3F300C4 1F12D99C
	v_mfma_f32_16x16x32_fp8_fp8 v[196:199], a[158:159], a[110:111], v[196:199]// 000000005000: D3F300C4 1F12DD9E
	v_mfma_f32_16x16x32_fp8_fp8 v[168:171], a[144:145], a[112:113], v[168:171]// 000000005008: D3F300A8 1EA2E190
	v_mfma_f32_16x16x32_fp8_fp8 v[168:171], a[146:147], a[114:115], v[168:171]// 000000005010: D3F300A8 1EA2E592
	v_mfma_f32_16x16x32_fp8_fp8 v[168:171], a[148:149], a[116:117], v[168:171]// 000000005018: D3F300A8 1EA2E994
	v_mfma_f32_16x16x32_fp8_fp8 v[168:171], a[150:151], a[118:119], v[168:171]// 000000005020: D3F300A8 1EA2ED96
	v_mfma_f32_16x16x32_fp8_fp8 v[200:203], a[152:153], a[112:113], v[200:203]// 000000005028: D3F300C8 1F22E198
	v_mfma_f32_16x16x32_fp8_fp8 v[200:203], a[154:155], a[114:115], v[200:203]// 000000005030: D3F300C8 1F22E59A
	v_mfma_f32_16x16x32_fp8_fp8 v[200:203], a[156:157], a[116:117], v[200:203]// 000000005038: D3F300C8 1F22E99C
	v_mfma_f32_16x16x32_fp8_fp8 v[200:203], a[158:159], a[118:119], v[200:203]// 000000005040: D3F300C8 1F22ED9E
	v_mfma_f32_16x16x32_fp8_fp8 v[172:175], a[144:145], a[120:121], v[172:175]// 000000005048: D3F300AC 1EB2F190
	s_add_u32 s60, 0x180, s80                                  // 000000005050: 803C50FF 00000180
	s_cmp_lt_u32 s60, s81                                      // 000000005058: BF0A513C
	s_cselect_b32 s57, s57, 0                                  // 00000000505C: 85398039
	v_mfma_f32_16x16x32_fp8_fp8 v[172:175], a[146:147], a[122:123], v[172:175]// 000000005060: D3F300AC 1EB2F592
	s_add_u32 s60, 0x100, s80                                  // 000000005068: 803C50FF 00000100
	s_cmp_lt_u32 s60, s81                                      // 000000005070: BF0A513C
	s_cselect_b32 s58, s58, 0                                  // 000000005074: 853A803A
	v_mfma_f32_16x16x32_fp8_fp8 v[172:175], a[148:149], a[124:125], v[172:175]// 000000005078: D3F300AC 1EB2F994
	s_add_u32 s60, 0x100, s80                                  // 000000005080: 803C50FF 00000100
	s_cmp_lt_u32 s60, s81                                      // 000000005088: BF0A513C
	s_cselect_b32 s83, s83, 0                                  // 00000000508C: 85538053
	v_mfma_f32_16x16x32_fp8_fp8 v[172:175], a[150:151], a[126:127], v[172:175]// 000000005090: D3F300AC 1EB2FD96
	s_add_u32 s24, s58, s24                                    // 000000005098: 8018183A
	s_addc_u32 s25, 0, s25                                     // 00000000509C: 82191980
	v_mfma_f32_16x16x32_fp8_fp8 v[204:207], a[152:153], a[120:121], v[204:207]// 0000000050A0: D3F300CC 1F32F198
	s_add_u32 s20, s57, s20                                    // 0000000050A8: 80141439
	s_addc_u32 s21, 0, s21                                     // 0000000050AC: 82151580
	v_mfma_f32_16x16x32_fp8_fp8 v[204:207], a[154:155], a[122:123], v[204:207]// 0000000050B0: D3F300CC 1F32F59A
	s_add_u32 s84, s83, s84                                    // 0000000050B8: 80545453
	s_addc_u32 s85, 0, s85                                     // 0000000050BC: 82555580
	v_mfma_f32_16x16x32_fp8_fp8 v[204:207], a[156:157], a[124:125], v[204:207]// 0000000050C0: D3F300CC 1F32F99C
	v_mfma_f32_16x16x32_fp8_fp8 v[204:207], a[158:159], a[126:127], v[204:207]// 0000000050C8: D3F300CC 1F32FD9E
	s_addk_i32 s80, 0x80                                       // 0000000050D0: B7500080
	s_cmp_lt_i32 s80, s81                                      // 0000000050D4: BF045150
	s_cbranch_scc0 label_0CC6                                  // 0000000050D8: BF84030F
	s_waitcnt vmcnt(20) lgkmcnt(0)                             // 0000000050DC: BF8C4074
	v_mfma_f32_16x16x32_fp8_fp8 v[80:83], a[160:161], a[0:1], v[80:83]// 0000000050E0: D3F30050 1D4201A0
	v_mfma_f32_16x16x32_fp8_fp8 v[80:83], a[162:163], a[2:3], v[80:83]// 0000000050E8: D3F30050 1D4205A2
	buffer_load_dwordx4 a[144:147], v78, s[24:27], 0 offen     // 0000000050F0: E05C1000 8086904E
	v_mfma_f32_16x16x32_fp8_fp8 v[80:83], a[164:165], a[4:5], v[80:83]// 0000000050F8: D3F30050 1D4209A4
	v_mfma_f32_16x16x32_fp8_fp8 v[80:83], a[166:167], a[6:7], v[80:83]// 000000005100: D3F30050 1D420DA6
	v_mfma_f32_16x16x32_fp8_fp8 v[112:115], a[168:169], a[0:1], v[112:115]// 000000005108: D3F30070 1DC201A8
	v_mfma_f32_16x16x32_fp8_fp8 v[112:115], a[170:171], a[2:3], v[112:115]// 000000005110: D3F30070 1DC205AA
	buffer_load_dwordx4 a[148:151], v78, s[24:27], 0 offen offset:1024// 000000005118: E05C1400 8086944E
	v_mfma_f32_16x16x32_fp8_fp8 v[112:115], a[172:173], a[4:5], v[112:115]// 000000005120: D3F30070 1DC209AC
	v_mfma_f32_16x16x32_fp8_fp8 v[112:115], a[174:175], a[6:7], v[112:115]// 000000005128: D3F30070 1DC20DAE
	v_mfma_f32_16x16x32_fp8_fp8 v[84:87], a[160:161], a[8:9], v[84:87]// 000000005130: D3F30054 1D5211A0
	v_mfma_f32_16x16x32_fp8_fp8 v[84:87], a[162:163], a[10:11], v[84:87]// 000000005138: D3F30054 1D5215A2
	buffer_load_dwordx4 a[152:155], v79, s[24:27], 0 offen     // 000000005140: E05C1000 8086984F
	v_mfma_f32_16x16x32_fp8_fp8 v[84:87], a[164:165], a[12:13], v[84:87]// 000000005148: D3F30054 1D5219A4
	v_mfma_f32_16x16x32_fp8_fp8 v[84:87], a[166:167], a[14:15], v[84:87]// 000000005150: D3F30054 1D521DA6
	v_mfma_f32_16x16x32_fp8_fp8 v[116:119], a[168:169], a[8:9], v[116:119]// 000000005158: D3F30074 1DD211A8
	v_mfma_f32_16x16x32_fp8_fp8 v[116:119], a[170:171], a[10:11], v[116:119]// 000000005160: D3F30074 1DD215AA
	buffer_load_dwordx4 a[156:159], v79, s[24:27], 0 offen offset:1024// 000000005168: E05C1400 80869C4F
	buffer_load_dword v62, s[20:23], 0 offen lds               // 000000005170: E0511000 8005003E
	s_add_u32 m0, 0x100, s48                                   // 000000005178: 807C30FF 00000100
	v_mfma_f32_16x16x32_fp8_fp8 v[116:119], a[172:173], a[12:13], v[116:119]// 000000005180: D3F30074 1DD219AC
	v_mfma_f32_16x16x32_fp8_fp8 v[116:119], a[174:175], a[14:15], v[116:119]// 000000005188: D3F30074 1DD21DAE
	buffer_load_dword v63, s[20:23], 0 offen lds               // 000000005190: E0511000 8005003F
	s_add_u32 m0, 0x200, s48                                   // 000000005198: 807C30FF 00000200
	v_mfma_f32_16x16x32_fp8_fp8 v[88:91], a[160:161], a[16:17], v[88:91]// 0000000051A0: D3F30058 1D6221A0
	v_mfma_f32_16x16x32_fp8_fp8 v[88:91], a[162:163], a[18:19], v[88:91]// 0000000051A8: D3F30058 1D6225A2
	buffer_load_dword v64, s[20:23], 0 offen lds               // 0000000051B0: E0511000 80050040
	s_add_u32 m0, 0x300, s48                                   // 0000000051B8: 807C30FF 00000300
	v_mfma_f32_16x16x32_fp8_fp8 v[88:91], a[164:165], a[20:21], v[88:91]// 0000000051C0: D3F30058 1D6229A4
	v_mfma_f32_16x16x32_fp8_fp8 v[88:91], a[166:167], a[22:23], v[88:91]// 0000000051C8: D3F30058 1D622DA6
	buffer_load_dword v65, s[20:23], 0 offen lds               // 0000000051D0: E0511000 80050041
	s_add_u32 m0, 0x400, s48                                   // 0000000051D8: 807C30FF 00000400
	v_mfma_f32_16x16x32_fp8_fp8 v[120:123], a[168:169], a[16:17], v[120:123]// 0000000051E0: D3F30078 1DE221A8
	v_mfma_f32_16x16x32_fp8_fp8 v[120:123], a[170:171], a[18:19], v[120:123]// 0000000051E8: D3F30078 1DE225AA
	buffer_load_dword v66, s[20:23], 0 offen lds               // 0000000051F0: E0511000 80050042
	s_add_u32 m0, 0x500, s48                                   // 0000000051F8: 807C30FF 00000500
	v_mfma_f32_16x16x32_fp8_fp8 v[120:123], a[172:173], a[20:21], v[120:123]// 000000005200: D3F30078 1DE229AC
	v_mfma_f32_16x16x32_fp8_fp8 v[120:123], a[174:175], a[22:23], v[120:123]// 000000005208: D3F30078 1DE22DAE
	buffer_load_dword v67, s[20:23], 0 offen lds               // 000000005210: E0511000 80050043
	s_add_u32 m0, 0x600, s48                                   // 000000005218: 807C30FF 00000600
	v_mfma_f32_16x16x32_fp8_fp8 v[92:95], a[160:161], a[24:25], v[92:95]// 000000005220: D3F3005C 1D7231A0
	v_mfma_f32_16x16x32_fp8_fp8 v[92:95], a[162:163], a[26:27], v[92:95]// 000000005228: D3F3005C 1D7235A2
	buffer_load_dword v68, s[20:23], 0 offen lds               // 000000005230: E0511000 80050044
	s_add_u32 m0, 0x700, s48                                   // 000000005238: 807C30FF 00000700
	v_mfma_f32_16x16x32_fp8_fp8 v[92:95], a[164:165], a[28:29], v[92:95]// 000000005240: D3F3005C 1D7239A4
	v_mfma_f32_16x16x32_fp8_fp8 v[92:95], a[166:167], a[30:31], v[92:95]// 000000005248: D3F3005C 1D723DA6
	buffer_load_dword v69, s[20:23], 0 offen lds               // 000000005250: E0511000 80050045
	s_add_u32 m0, 0x800, s48                                   // 000000005258: 807C30FF 00000800
	v_mfma_f32_16x16x32_fp8_fp8 v[124:127], a[168:169], a[24:25], v[124:127]// 000000005260: D3F3007C 1DF231A8
	v_mfma_f32_16x16x32_fp8_fp8 v[124:127], a[170:171], a[26:27], v[124:127]// 000000005268: D3F3007C 1DF235AA
	buffer_load_dword v70, s[20:23], 0 offen lds               // 000000005270: E0511000 80050046
	s_add_u32 m0, 0x900, s48                                   // 000000005278: 807C30FF 00000900
	v_mfma_f32_16x16x32_fp8_fp8 v[124:127], a[172:173], a[28:29], v[124:127]// 000000005280: D3F3007C 1DF239AC
	v_mfma_f32_16x16x32_fp8_fp8 v[124:127], a[174:175], a[30:31], v[124:127]// 000000005288: D3F3007C 1DF23DAE
	buffer_load_dword v71, s[20:23], 0 offen lds               // 000000005290: E0511000 80050047
	s_add_u32 m0, 0xa00, s48                                   // 000000005298: 807C30FF 00000A00
	v_mfma_f32_16x16x32_fp8_fp8 v[96:99], a[160:161], a[32:33], v[96:99]// 0000000052A0: D3F30060 1D8241A0
	v_mfma_f32_16x16x32_fp8_fp8 v[96:99], a[162:163], a[34:35], v[96:99]// 0000000052A8: D3F30060 1D8245A2
	v_mfma_f32_16x16x32_fp8_fp8 v[96:99], a[164:165], a[36:37], v[96:99]// 0000000052B0: D3F30060 1D8249A4
	v_mfma_f32_16x16x32_fp8_fp8 v[96:99], a[166:167], a[38:39], v[96:99]// 0000000052B8: D3F30060 1D824DA6
	v_mfma_f32_16x16x32_fp8_fp8 v[128:131], a[168:169], a[32:33], v[128:131]// 0000000052C0: D3F30080 1E0241A8
	v_mfma_f32_16x16x32_fp8_fp8 v[128:131], a[170:171], a[34:35], v[128:131]// 0000000052C8: D3F30080 1E0245AA
	v_mfma_f32_16x16x32_fp8_fp8 v[128:131], a[172:173], a[36:37], v[128:131]// 0000000052D0: D3F30080 1E0249AC
	v_mfma_f32_16x16x32_fp8_fp8 v[128:131], a[174:175], a[38:39], v[128:131]// 0000000052D8: D3F30080 1E024DAE
	v_mfma_f32_16x16x32_fp8_fp8 v[100:103], a[160:161], a[40:41], v[100:103]// 0000000052E0: D3F30064 1D9251A0
	v_mfma_f32_16x16x32_fp8_fp8 v[100:103], a[162:163], a[42:43], v[100:103]// 0000000052E8: D3F30064 1D9255A2
	buffer_load_dword v72, s[20:23], 0 offen lds               // 0000000052F0: E0511000 80050048
	s_add_u32 m0, 0xb00, s48                                   // 0000000052F8: 807C30FF 00000B00
	v_mfma_f32_16x16x32_fp8_fp8 v[100:103], a[164:165], a[44:45], v[100:103]// 000000005300: D3F30064 1D9259A4
	v_mfma_f32_16x16x32_fp8_fp8 v[100:103], a[166:167], a[46:47], v[100:103]// 000000005308: D3F30064 1D925DA6
	buffer_load_dword v73, s[20:23], 0 offen lds               // 000000005310: E0511000 80050049
	s_add_u32 m0, 0xc00, s48                                   // 000000005318: 807C30FF 00000C00
	v_mfma_f32_16x16x32_fp8_fp8 v[132:135], a[168:169], a[40:41], v[132:135]// 000000005320: D3F30084 1E1251A8
	v_mfma_f32_16x16x32_fp8_fp8 v[132:135], a[170:171], a[42:43], v[132:135]// 000000005328: D3F30084 1E1255AA
	buffer_load_dword v74, s[20:23], 0 offen lds               // 000000005330: E0511000 8005004A
	s_add_u32 m0, 0xd00, s48                                   // 000000005338: 807C30FF 00000D00
	v_mfma_f32_16x16x32_fp8_fp8 v[132:135], a[172:173], a[44:45], v[132:135]// 000000005340: D3F30084 1E1259AC
	v_mfma_f32_16x16x32_fp8_fp8 v[132:135], a[174:175], a[46:47], v[132:135]// 000000005348: D3F30084 1E125DAE
	buffer_load_dword v75, s[20:23], 0 offen lds               // 000000005350: E0511000 8005004B
	s_add_u32 m0, 0xe00, s48                                   // 000000005358: 807C30FF 00000E00
	v_mfma_f32_16x16x32_fp8_fp8 v[104:107], a[160:161], a[48:49], v[104:107]// 000000005360: D3F30068 1DA261A0
	v_mfma_f32_16x16x32_fp8_fp8 v[104:107], a[162:163], a[50:51], v[104:107]// 000000005368: D3F30068 1DA265A2
	v_mfma_f32_16x16x32_fp8_fp8 v[104:107], a[164:165], a[52:53], v[104:107]// 000000005370: D3F30068 1DA269A4
	v_mfma_f32_16x16x32_fp8_fp8 v[104:107], a[166:167], a[54:55], v[104:107]// 000000005378: D3F30068 1DA26DA6
	v_mfma_f32_16x16x32_fp8_fp8 v[136:139], a[168:169], a[48:49], v[136:139]// 000000005380: D3F30088 1E2261A8
	v_mfma_f32_16x16x32_fp8_fp8 v[136:139], a[170:171], a[50:51], v[136:139]// 000000005388: D3F30088 1E2265AA
	v_mfma_f32_16x16x32_fp8_fp8 v[136:139], a[172:173], a[52:53], v[136:139]// 000000005390: D3F30088 1E2269AC
	v_mfma_f32_16x16x32_fp8_fp8 v[136:139], a[174:175], a[54:55], v[136:139]// 000000005398: D3F30088 1E226DAE
	v_mfma_f32_16x16x32_fp8_fp8 v[108:111], a[160:161], a[56:57], v[108:111]// 0000000053A0: D3F3006C 1DB271A0
	v_mfma_f32_16x16x32_fp8_fp8 v[108:111], a[162:163], a[58:59], v[108:111]// 0000000053A8: D3F3006C 1DB275A2
	buffer_load_dword v76, s[20:23], 0 offen lds               // 0000000053B0: E0511000 8005004C
	s_add_u32 m0, 0xf00, s48                                   // 0000000053B8: 807C30FF 00000F00
	v_mfma_f32_16x16x32_fp8_fp8 v[108:111], a[164:165], a[60:61], v[108:111]// 0000000053C0: D3F3006C 1DB279A4
	v_mfma_f32_16x16x32_fp8_fp8 v[108:111], a[166:167], a[62:63], v[108:111]// 0000000053C8: D3F3006C 1DB27DA6
	buffer_load_dword v77, s[20:23], 0 offen lds               // 0000000053D0: E0511000 8005004D
	s_add_u32 m0, 0, s49                                       // 0000000053D8: 807C3180
	v_mfma_f32_16x16x32_fp8_fp8 v[140:143], a[168:169], a[56:57], v[140:143]// 0000000053DC: D3F3008C 1E3271A8
	v_mfma_f32_16x16x32_fp8_fp8 v[140:143], a[170:171], a[58:59], v[140:143]// 0000000053E4: D3F3008C 1E3275AA
	v_mfma_f32_16x16x32_fp8_fp8 v[140:143], a[172:173], a[60:61], v[140:143]// 0000000053EC: D3F3008C 1E3279AC
	v_mfma_f32_16x16x32_fp8_fp8 v[140:143], a[174:175], a[62:63], v[140:143]// 0000000053F4: D3F3008C 1E327DAE
	s_waitcnt vmcnt(20)                                        // 0000000053FC: BF8C4F74
	s_barrier                                                  // 000000005400: BF8A0000
	v_mfma_f32_16x16x32_fp8_fp8 v[144:147], a[128:129], a[0:1], v[144:147]// 000000005404: D3F30090 1E420180
	v_mfma_f32_16x16x32_fp8_fp8 v[144:147], a[130:131], a[2:3], v[144:147]// 00000000540C: D3F30090 1E420582
	buffer_load_dwordx4 a[160:163], v78, s[84:87], 0 offen     // 000000005414: E05C1000 8095A04E
	v_mfma_f32_16x16x32_fp8_fp8 v[144:147], a[132:133], a[4:5], v[144:147]// 00000000541C: D3F30090 1E420984
	v_mfma_f32_16x16x32_fp8_fp8 v[144:147], a[134:135], a[6:7], v[144:147]// 000000005424: D3F30090 1E420D86
	ds_read_b128 a[64:67], v2 offset:33024                     // 00000000542C: DBFE8100 40000002
	ds_read_b128 a[68:71], v2 offset:33088                     // 000000005434: DBFE8140 44000002
	v_mfma_f32_16x16x32_fp8_fp8 v[176:179], a[136:137], a[0:1], v[176:179]// 00000000543C: D3F300B0 1EC20188
	v_mfma_f32_16x16x32_fp8_fp8 v[176:179], a[138:139], a[2:3], v[176:179]// 000000005444: D3F300B0 1EC2058A
	buffer_load_dwordx4 a[164:167], v78, s[84:87], 0 offen offset:1024// 00000000544C: E05C1400 8095A44E
	v_mfma_f32_16x16x32_fp8_fp8 v[176:179], a[140:141], a[4:5], v[176:179]// 000000005454: D3F300B0 1EC2098C
	v_mfma_f32_16x16x32_fp8_fp8 v[176:179], a[142:143], a[6:7], v[176:179]// 00000000545C: D3F300B0 1EC20D8E
	ds_read_b128 a[72:75], v2 offset:33536                     // 000000005464: DBFE8300 48000002
	ds_read_b128 a[76:79], v2 offset:33600                     // 00000000546C: DBFE8340 4C000002
	v_mfma_f32_16x16x32_fp8_fp8 v[148:151], a[128:129], a[8:9], v[148:151]// 000000005474: D3F30094 1E521180
	v_mfma_f32_16x16x32_fp8_fp8 v[148:151], a[130:131], a[10:11], v[148:151]// 00000000547C: D3F30094 1E521582
	buffer_load_dwordx4 a[168:171], v79, s[84:87], 0 offen     // 000000005484: E05C1000 8095A84F
	v_mfma_f32_16x16x32_fp8_fp8 v[148:151], a[132:133], a[12:13], v[148:151]// 00000000548C: D3F30094 1E521984
	v_mfma_f32_16x16x32_fp8_fp8 v[148:151], a[134:135], a[14:15], v[148:151]// 000000005494: D3F30094 1E521D86
	ds_read_b128 a[80:83], v2 offset:34048                     // 00000000549C: DBFE8500 50000002
	ds_read_b128 a[84:87], v2 offset:34112                     // 0000000054A4: DBFE8540 54000002
	v_mfma_f32_16x16x32_fp8_fp8 v[180:183], a[136:137], a[8:9], v[180:183]// 0000000054AC: D3F300B4 1ED21188
	v_mfma_f32_16x16x32_fp8_fp8 v[180:183], a[138:139], a[10:11], v[180:183]// 0000000054B4: D3F300B4 1ED2158A
	buffer_load_dwordx4 a[172:175], v79, s[84:87], 0 offen offset:1024// 0000000054BC: E05C1400 8095AC4F
	v_mfma_f32_16x16x32_fp8_fp8 v[180:183], a[140:141], a[12:13], v[180:183]// 0000000054C4: D3F300B4 1ED2198C
	v_mfma_f32_16x16x32_fp8_fp8 v[180:183], a[142:143], a[14:15], v[180:183]// 0000000054CC: D3F300B4 1ED21D8E
	ds_read_b128 a[88:91], v2 offset:34560                     // 0000000054D4: DBFE8700 58000002
	ds_read_b128 a[92:95], v2 offset:34624                     // 0000000054DC: DBFE8740 5C000002
	v_mfma_f32_16x16x32_fp8_fp8 v[152:155], a[128:129], a[16:17], v[152:155]// 0000000054E4: D3F30098 1E622180
	v_mfma_f32_16x16x32_fp8_fp8 v[152:155], a[130:131], a[18:19], v[152:155]// 0000000054EC: D3F30098 1E622582
	v_mfma_f32_16x16x32_fp8_fp8 v[152:155], a[132:133], a[20:21], v[152:155]// 0000000054F4: D3F30098 1E622984
	v_mfma_f32_16x16x32_fp8_fp8 v[152:155], a[134:135], a[22:23], v[152:155]// 0000000054FC: D3F30098 1E622D86
	ds_read_b128 a[96:99], v2 offset:35072                     // 000000005504: DBFE8900 60000002
	ds_read_b128 a[100:103], v2 offset:35136                   // 00000000550C: DBFE8940 64000002
	v_mfma_f32_16x16x32_fp8_fp8 v[184:187], a[136:137], a[16:17], v[184:187]// 000000005514: D3F300B8 1EE22188
	v_mfma_f32_16x16x32_fp8_fp8 v[184:187], a[138:139], a[18:19], v[184:187]// 00000000551C: D3F300B8 1EE2258A
	v_mfma_f32_16x16x32_fp8_fp8 v[184:187], a[140:141], a[20:21], v[184:187]// 000000005524: D3F300B8 1EE2298C
	v_mfma_f32_16x16x32_fp8_fp8 v[184:187], a[142:143], a[22:23], v[184:187]// 00000000552C: D3F300B8 1EE22D8E
	ds_read_b128 a[104:107], v2 offset:35584                   // 000000005534: DBFE8B00 68000002
	ds_read_b128 a[108:111], v2 offset:35648                   // 00000000553C: DBFE8B40 6C000002
	v_mfma_f32_16x16x32_fp8_fp8 v[156:159], a[128:129], a[24:25], v[156:159]// 000000005544: D3F3009C 1E723180
	v_mfma_f32_16x16x32_fp8_fp8 v[156:159], a[130:131], a[26:27], v[156:159]// 00000000554C: D3F3009C 1E723582
	v_mfma_f32_16x16x32_fp8_fp8 v[156:159], a[132:133], a[28:29], v[156:159]// 000000005554: D3F3009C 1E723984
	v_mfma_f32_16x16x32_fp8_fp8 v[156:159], a[134:135], a[30:31], v[156:159]// 00000000555C: D3F3009C 1E723D86
	ds_read_b128 a[112:115], v2 offset:36096                   // 000000005564: DBFE8D00 70000002
	ds_read_b128 a[116:119], v2 offset:36160                   // 00000000556C: DBFE8D40 74000002
	v_mfma_f32_16x16x32_fp8_fp8 v[188:191], a[136:137], a[24:25], v[188:191]// 000000005574: D3F300BC 1EF23188
	v_mfma_f32_16x16x32_fp8_fp8 v[188:191], a[138:139], a[26:27], v[188:191]// 00000000557C: D3F300BC 1EF2358A
	v_mfma_f32_16x16x32_fp8_fp8 v[188:191], a[140:141], a[28:29], v[188:191]// 000000005584: D3F300BC 1EF2398C
	v_mfma_f32_16x16x32_fp8_fp8 v[188:191], a[142:143], a[30:31], v[188:191]// 00000000558C: D3F300BC 1EF23D8E
	ds_read_b128 a[120:123], v2 offset:36608                   // 000000005594: DBFE8F00 78000002
	ds_read_b128 a[124:127], v2 offset:36672                   // 00000000559C: DBFE8F40 7C000002
	v_mfma_f32_16x16x32_fp8_fp8 v[160:163], a[128:129], a[32:33], v[160:163]// 0000000055A4: D3F300A0 1E824180
	v_mfma_f32_16x16x32_fp8_fp8 v[160:163], a[130:131], a[34:35], v[160:163]// 0000000055AC: D3F300A0 1E824582
	v_mfma_f32_16x16x32_fp8_fp8 v[160:163], a[132:133], a[36:37], v[160:163]// 0000000055B4: D3F300A0 1E824984
	v_mfma_f32_16x16x32_fp8_fp8 v[160:163], a[134:135], a[38:39], v[160:163]// 0000000055BC: D3F300A0 1E824D86
	v_mfma_f32_16x16x32_fp8_fp8 v[192:195], a[136:137], a[32:33], v[192:195]// 0000000055C4: D3F300C0 1F024188
	v_mfma_f32_16x16x32_fp8_fp8 v[192:195], a[138:139], a[34:35], v[192:195]// 0000000055CC: D3F300C0 1F02458A
	v_mfma_f32_16x16x32_fp8_fp8 v[192:195], a[140:141], a[36:37], v[192:195]// 0000000055D4: D3F300C0 1F02498C
	v_mfma_f32_16x16x32_fp8_fp8 v[192:195], a[142:143], a[38:39], v[192:195]// 0000000055DC: D3F300C0 1F024D8E
	v_mfma_f32_16x16x32_fp8_fp8 v[164:167], a[128:129], a[40:41], v[164:167]// 0000000055E4: D3F300A4 1E925180
	v_mfma_f32_16x16x32_fp8_fp8 v[164:167], a[130:131], a[42:43], v[164:167]// 0000000055EC: D3F300A4 1E925582
	v_mfma_f32_16x16x32_fp8_fp8 v[164:167], a[132:133], a[44:45], v[164:167]// 0000000055F4: D3F300A4 1E925984
	v_mfma_f32_16x16x32_fp8_fp8 v[164:167], a[134:135], a[46:47], v[164:167]// 0000000055FC: D3F300A4 1E925D86
	v_mfma_f32_16x16x32_fp8_fp8 v[196:199], a[136:137], a[40:41], v[196:199]// 000000005604: D3F300C4 1F125188
	v_mfma_f32_16x16x32_fp8_fp8 v[196:199], a[138:139], a[42:43], v[196:199]// 00000000560C: D3F300C4 1F12558A
	v_mfma_f32_16x16x32_fp8_fp8 v[196:199], a[140:141], a[44:45], v[196:199]// 000000005614: D3F300C4 1F12598C
	v_mfma_f32_16x16x32_fp8_fp8 v[196:199], a[142:143], a[46:47], v[196:199]// 00000000561C: D3F300C4 1F125D8E
	v_mfma_f32_16x16x32_fp8_fp8 v[168:171], a[128:129], a[48:49], v[168:171]// 000000005624: D3F300A8 1EA26180
	v_mfma_f32_16x16x32_fp8_fp8 v[168:171], a[130:131], a[50:51], v[168:171]// 00000000562C: D3F300A8 1EA26582
	v_mfma_f32_16x16x32_fp8_fp8 v[168:171], a[132:133], a[52:53], v[168:171]// 000000005634: D3F300A8 1EA26984
	v_mfma_f32_16x16x32_fp8_fp8 v[168:171], a[134:135], a[54:55], v[168:171]// 00000000563C: D3F300A8 1EA26D86
	v_mfma_f32_16x16x32_fp8_fp8 v[200:203], a[136:137], a[48:49], v[200:203]// 000000005644: D3F300C8 1F226188
	v_mfma_f32_16x16x32_fp8_fp8 v[200:203], a[138:139], a[50:51], v[200:203]// 00000000564C: D3F300C8 1F22658A
	v_mfma_f32_16x16x32_fp8_fp8 v[200:203], a[140:141], a[52:53], v[200:203]// 000000005654: D3F300C8 1F22698C
	v_mfma_f32_16x16x32_fp8_fp8 v[200:203], a[142:143], a[54:55], v[200:203]// 00000000565C: D3F300C8 1F226D8E
	v_mfma_f32_16x16x32_fp8_fp8 v[172:175], a[128:129], a[56:57], v[172:175]// 000000005664: D3F300AC 1EB27180
	s_add_u32 s60, 0x180, s80                                  // 00000000566C: 803C50FF 00000180
	s_cmp_lt_u32 s60, s81                                      // 000000005674: BF0A513C
	s_cselect_b32 s57, s57, 0                                  // 000000005678: 85398039
	v_mfma_f32_16x16x32_fp8_fp8 v[172:175], a[130:131], a[58:59], v[172:175]// 00000000567C: D3F300AC 1EB27582
	s_add_u32 s60, 0x100, s80                                  // 000000005684: 803C50FF 00000100
	s_cmp_lt_u32 s60, s81                                      // 00000000568C: BF0A513C
	s_cselect_b32 s58, s58, 0                                  // 000000005690: 853A803A
	v_mfma_f32_16x16x32_fp8_fp8 v[172:175], a[132:133], a[60:61], v[172:175]// 000000005694: D3F300AC 1EB27984
	s_add_u32 s60, 0x100, s80                                  // 00000000569C: 803C50FF 00000100
	s_cmp_lt_u32 s60, s81                                      // 0000000056A4: BF0A513C
	s_cselect_b32 s83, s83, 0                                  // 0000000056A8: 85538053
	v_mfma_f32_16x16x32_fp8_fp8 v[172:175], a[134:135], a[62:63], v[172:175]// 0000000056AC: D3F300AC 1EB27D86
	s_add_u32 s24, s58, s24                                    // 0000000056B4: 8018183A
	s_addc_u32 s25, 0, s25                                     // 0000000056B8: 82191980
	v_mfma_f32_16x16x32_fp8_fp8 v[204:207], a[136:137], a[56:57], v[204:207]// 0000000056BC: D3F300CC 1F327188
	s_add_u32 s20, s57, s20                                    // 0000000056C4: 80141439
	s_addc_u32 s21, 0, s21                                     // 0000000056C8: 82151580
	v_mfma_f32_16x16x32_fp8_fp8 v[204:207], a[138:139], a[58:59], v[204:207]// 0000000056CC: D3F300CC 1F32758A
	s_add_u32 s84, s83, s84                                    // 0000000056D4: 80545453
	s_addc_u32 s85, 0, s85                                     // 0000000056D8: 82555580
	v_mfma_f32_16x16x32_fp8_fp8 v[204:207], a[140:141], a[60:61], v[204:207]// 0000000056DC: D3F300CC 1F32798C
	v_mfma_f32_16x16x32_fp8_fp8 v[204:207], a[142:143], a[62:63], v[204:207]// 0000000056E4: D3F300CC 1F327D8E
	s_addk_i32 s80, 0x80                                       // 0000000056EC: B7500080
	s_cmp_lt_i32 s80, s81                                      // 0000000056F0: BF045150
	s_cbranch_scc0 label_0CC6                                  // 0000000056F4: BF840188
	s_waitcnt vmcnt(20) lgkmcnt(0)                             // 0000000056F8: BF8C4074
	v_mfma_f32_16x16x32_fp8_fp8 v[80:83], a[144:145], a[64:65], v[80:83]// 0000000056FC: D3F30050 1D428190
	v_mfma_f32_16x16x32_fp8_fp8 v[80:83], a[146:147], a[66:67], v[80:83]// 000000005704: D3F30050 1D428592
	buffer_load_dwordx4 a[128:131], v78, s[24:27], 0 offen     // 00000000570C: E05C1000 8086804E
	v_mfma_f32_16x16x32_fp8_fp8 v[80:83], a[148:149], a[68:69], v[80:83]// 000000005714: D3F30050 1D428994
	v_mfma_f32_16x16x32_fp8_fp8 v[80:83], a[150:151], a[70:71], v[80:83]// 00000000571C: D3F30050 1D428D96
	v_mfma_f32_16x16x32_fp8_fp8 v[112:115], a[152:153], a[64:65], v[112:115]// 000000005724: D3F30070 1DC28198
	v_mfma_f32_16x16x32_fp8_fp8 v[112:115], a[154:155], a[66:67], v[112:115]// 00000000572C: D3F30070 1DC2859A
	buffer_load_dwordx4 a[132:135], v78, s[24:27], 0 offen offset:1024// 000000005734: E05C1400 8086844E
	v_mfma_f32_16x16x32_fp8_fp8 v[112:115], a[156:157], a[68:69], v[112:115]// 00000000573C: D3F30070 1DC2899C
	v_mfma_f32_16x16x32_fp8_fp8 v[112:115], a[158:159], a[70:71], v[112:115]// 000000005744: D3F30070 1DC28D9E
	v_mfma_f32_16x16x32_fp8_fp8 v[84:87], a[144:145], a[72:73], v[84:87]// 00000000574C: D3F30054 1D529190
	v_mfma_f32_16x16x32_fp8_fp8 v[84:87], a[146:147], a[74:75], v[84:87]// 000000005754: D3F30054 1D529592
	buffer_load_dwordx4 a[136:139], v79, s[24:27], 0 offen     // 00000000575C: E05C1000 8086884F
	v_mfma_f32_16x16x32_fp8_fp8 v[84:87], a[148:149], a[76:77], v[84:87]// 000000005764: D3F30054 1D529994
	v_mfma_f32_16x16x32_fp8_fp8 v[84:87], a[150:151], a[78:79], v[84:87]// 00000000576C: D3F30054 1D529D96
	v_mfma_f32_16x16x32_fp8_fp8 v[116:119], a[152:153], a[72:73], v[116:119]// 000000005774: D3F30074 1DD29198
	v_mfma_f32_16x16x32_fp8_fp8 v[116:119], a[154:155], a[74:75], v[116:119]// 00000000577C: D3F30074 1DD2959A
	buffer_load_dwordx4 a[140:143], v79, s[24:27], 0 offen offset:1024// 000000005784: E05C1400 80868C4F
	buffer_load_dword v62, s[20:23], 0 offen lds               // 00000000578C: E0511000 8005003E
	s_add_u32 m0, 0x100, s49                                   // 000000005794: 807C31FF 00000100
	v_mfma_f32_16x16x32_fp8_fp8 v[116:119], a[156:157], a[76:77], v[116:119]// 00000000579C: D3F30074 1DD2999C
	v_mfma_f32_16x16x32_fp8_fp8 v[116:119], a[158:159], a[78:79], v[116:119]// 0000000057A4: D3F30074 1DD29D9E
	buffer_load_dword v63, s[20:23], 0 offen lds               // 0000000057AC: E0511000 8005003F
	s_add_u32 m0, 0x200, s49                                   // 0000000057B4: 807C31FF 00000200
	v_mfma_f32_16x16x32_fp8_fp8 v[88:91], a[144:145], a[80:81], v[88:91]// 0000000057BC: D3F30058 1D62A190
	v_mfma_f32_16x16x32_fp8_fp8 v[88:91], a[146:147], a[82:83], v[88:91]// 0000000057C4: D3F30058 1D62A592
	buffer_load_dword v64, s[20:23], 0 offen lds               // 0000000057CC: E0511000 80050040
	s_add_u32 m0, 0x300, s49                                   // 0000000057D4: 807C31FF 00000300
	v_mfma_f32_16x16x32_fp8_fp8 v[88:91], a[148:149], a[84:85], v[88:91]// 0000000057DC: D3F30058 1D62A994
	v_mfma_f32_16x16x32_fp8_fp8 v[88:91], a[150:151], a[86:87], v[88:91]// 0000000057E4: D3F30058 1D62AD96
	buffer_load_dword v65, s[20:23], 0 offen lds               // 0000000057EC: E0511000 80050041
	s_add_u32 m0, 0x400, s49                                   // 0000000057F4: 807C31FF 00000400
	v_mfma_f32_16x16x32_fp8_fp8 v[120:123], a[152:153], a[80:81], v[120:123]// 0000000057FC: D3F30078 1DE2A198
	v_mfma_f32_16x16x32_fp8_fp8 v[120:123], a[154:155], a[82:83], v[120:123]// 000000005804: D3F30078 1DE2A59A
	buffer_load_dword v66, s[20:23], 0 offen lds               // 00000000580C: E0511000 80050042
	s_add_u32 m0, 0x500, s49                                   // 000000005814: 807C31FF 00000500
	v_mfma_f32_16x16x32_fp8_fp8 v[120:123], a[156:157], a[84:85], v[120:123]// 00000000581C: D3F30078 1DE2A99C
	v_mfma_f32_16x16x32_fp8_fp8 v[120:123], a[158:159], a[86:87], v[120:123]// 000000005824: D3F30078 1DE2AD9E
	buffer_load_dword v67, s[20:23], 0 offen lds               // 00000000582C: E0511000 80050043
	s_add_u32 m0, 0x600, s49                                   // 000000005834: 807C31FF 00000600
	v_mfma_f32_16x16x32_fp8_fp8 v[92:95], a[144:145], a[88:89], v[92:95]// 00000000583C: D3F3005C 1D72B190
	v_mfma_f32_16x16x32_fp8_fp8 v[92:95], a[146:147], a[90:91], v[92:95]// 000000005844: D3F3005C 1D72B592
	buffer_load_dword v68, s[20:23], 0 offen lds               // 00000000584C: E0511000 80050044
	s_add_u32 m0, 0x700, s49                                   // 000000005854: 807C31FF 00000700
	v_mfma_f32_16x16x32_fp8_fp8 v[92:95], a[148:149], a[92:93], v[92:95]// 00000000585C: D3F3005C 1D72B994
	v_mfma_f32_16x16x32_fp8_fp8 v[92:95], a[150:151], a[94:95], v[92:95]// 000000005864: D3F3005C 1D72BD96
	buffer_load_dword v69, s[20:23], 0 offen lds               // 00000000586C: E0511000 80050045
	s_add_u32 m0, 0x800, s49                                   // 000000005874: 807C31FF 00000800
	v_mfma_f32_16x16x32_fp8_fp8 v[124:127], a[152:153], a[88:89], v[124:127]// 00000000587C: D3F3007C 1DF2B198
	v_mfma_f32_16x16x32_fp8_fp8 v[124:127], a[154:155], a[90:91], v[124:127]// 000000005884: D3F3007C 1DF2B59A
	buffer_load_dword v70, s[20:23], 0 offen lds               // 00000000588C: E0511000 80050046
	s_add_u32 m0, 0x900, s49                                   // 000000005894: 807C31FF 00000900
	v_mfma_f32_16x16x32_fp8_fp8 v[124:127], a[156:157], a[92:93], v[124:127]// 00000000589C: D3F3007C 1DF2B99C
	v_mfma_f32_16x16x32_fp8_fp8 v[124:127], a[158:159], a[94:95], v[124:127]// 0000000058A4: D3F3007C 1DF2BD9E
	buffer_load_dword v71, s[20:23], 0 offen lds               // 0000000058AC: E0511000 80050047
	s_add_u32 m0, 0xa00, s49                                   // 0000000058B4: 807C31FF 00000A00
	v_mfma_f32_16x16x32_fp8_fp8 v[96:99], a[144:145], a[96:97], v[96:99]// 0000000058BC: D3F30060 1D82C190
	v_mfma_f32_16x16x32_fp8_fp8 v[96:99], a[146:147], a[98:99], v[96:99]// 0000000058C4: D3F30060 1D82C592
	v_mfma_f32_16x16x32_fp8_fp8 v[96:99], a[148:149], a[100:101], v[96:99]// 0000000058CC: D3F30060 1D82C994
	v_mfma_f32_16x16x32_fp8_fp8 v[96:99], a[150:151], a[102:103], v[96:99]// 0000000058D4: D3F30060 1D82CD96
	v_mfma_f32_16x16x32_fp8_fp8 v[128:131], a[152:153], a[96:97], v[128:131]// 0000000058DC: D3F30080 1E02C198
	v_mfma_f32_16x16x32_fp8_fp8 v[128:131], a[154:155], a[98:99], v[128:131]// 0000000058E4: D3F30080 1E02C59A
	v_mfma_f32_16x16x32_fp8_fp8 v[128:131], a[156:157], a[100:101], v[128:131]// 0000000058EC: D3F30080 1E02C99C
	v_mfma_f32_16x16x32_fp8_fp8 v[128:131], a[158:159], a[102:103], v[128:131]// 0000000058F4: D3F30080 1E02CD9E
	v_mfma_f32_16x16x32_fp8_fp8 v[100:103], a[144:145], a[104:105], v[100:103]// 0000000058FC: D3F30064 1D92D190
	v_mfma_f32_16x16x32_fp8_fp8 v[100:103], a[146:147], a[106:107], v[100:103]// 000000005904: D3F30064 1D92D592
	buffer_load_dword v72, s[20:23], 0 offen lds               // 00000000590C: E0511000 80050048
	s_add_u32 m0, 0xb00, s49                                   // 000000005914: 807C31FF 00000B00
	v_mfma_f32_16x16x32_fp8_fp8 v[100:103], a[148:149], a[108:109], v[100:103]// 00000000591C: D3F30064 1D92D994
	v_mfma_f32_16x16x32_fp8_fp8 v[100:103], a[150:151], a[110:111], v[100:103]// 000000005924: D3F30064 1D92DD96
	buffer_load_dword v73, s[20:23], 0 offen lds               // 00000000592C: E0511000 80050049
	s_add_u32 m0, 0xc00, s49                                   // 000000005934: 807C31FF 00000C00
	v_mfma_f32_16x16x32_fp8_fp8 v[132:135], a[152:153], a[104:105], v[132:135]// 00000000593C: D3F30084 1E12D198
	v_mfma_f32_16x16x32_fp8_fp8 v[132:135], a[154:155], a[106:107], v[132:135]// 000000005944: D3F30084 1E12D59A
	buffer_load_dword v74, s[20:23], 0 offen lds               // 00000000594C: E0511000 8005004A
	s_add_u32 m0, 0xd00, s49                                   // 000000005954: 807C31FF 00000D00
	v_mfma_f32_16x16x32_fp8_fp8 v[132:135], a[156:157], a[108:109], v[132:135]// 00000000595C: D3F30084 1E12D99C
	v_mfma_f32_16x16x32_fp8_fp8 v[132:135], a[158:159], a[110:111], v[132:135]// 000000005964: D3F30084 1E12DD9E
	buffer_load_dword v75, s[20:23], 0 offen lds               // 00000000596C: E0511000 8005004B
	s_add_u32 m0, 0xe00, s49                                   // 000000005974: 807C31FF 00000E00
	v_mfma_f32_16x16x32_fp8_fp8 v[104:107], a[144:145], a[112:113], v[104:107]// 00000000597C: D3F30068 1DA2E190
	v_mfma_f32_16x16x32_fp8_fp8 v[104:107], a[146:147], a[114:115], v[104:107]// 000000005984: D3F30068 1DA2E592
	v_mfma_f32_16x16x32_fp8_fp8 v[104:107], a[148:149], a[116:117], v[104:107]// 00000000598C: D3F30068 1DA2E994
	v_mfma_f32_16x16x32_fp8_fp8 v[104:107], a[150:151], a[118:119], v[104:107]// 000000005994: D3F30068 1DA2ED96
	v_mfma_f32_16x16x32_fp8_fp8 v[136:139], a[152:153], a[112:113], v[136:139]// 00000000599C: D3F30088 1E22E198
	v_mfma_f32_16x16x32_fp8_fp8 v[136:139], a[154:155], a[114:115], v[136:139]// 0000000059A4: D3F30088 1E22E59A
	v_mfma_f32_16x16x32_fp8_fp8 v[136:139], a[156:157], a[116:117], v[136:139]// 0000000059AC: D3F30088 1E22E99C
	v_mfma_f32_16x16x32_fp8_fp8 v[136:139], a[158:159], a[118:119], v[136:139]// 0000000059B4: D3F30088 1E22ED9E
	v_mfma_f32_16x16x32_fp8_fp8 v[108:111], a[144:145], a[120:121], v[108:111]// 0000000059BC: D3F3006C 1DB2F190
	v_mfma_f32_16x16x32_fp8_fp8 v[108:111], a[146:147], a[122:123], v[108:111]// 0000000059C4: D3F3006C 1DB2F592
	buffer_load_dword v76, s[20:23], 0 offen lds               // 0000000059CC: E0511000 8005004C
	s_add_u32 m0, 0xf00, s49                                   // 0000000059D4: 807C31FF 00000F00
	v_mfma_f32_16x16x32_fp8_fp8 v[108:111], a[148:149], a[124:125], v[108:111]// 0000000059DC: D3F3006C 1DB2F994
	v_mfma_f32_16x16x32_fp8_fp8 v[108:111], a[150:151], a[126:127], v[108:111]// 0000000059E4: D3F3006C 1DB2FD96
	buffer_load_dword v77, s[20:23], 0 offen lds               // 0000000059EC: E0511000 8005004D
	s_add_u32 m0, 0, s50                                       // 0000000059F4: 807C3280
	v_mfma_f32_16x16x32_fp8_fp8 v[140:143], a[152:153], a[120:121], v[140:143]// 0000000059F8: D3F3008C 1E32F198
	v_mfma_f32_16x16x32_fp8_fp8 v[140:143], a[154:155], a[122:123], v[140:143]// 000000005A00: D3F3008C 1E32F59A
	v_mfma_f32_16x16x32_fp8_fp8 v[140:143], a[156:157], a[124:125], v[140:143]// 000000005A08: D3F3008C 1E32F99C
	v_mfma_f32_16x16x32_fp8_fp8 v[140:143], a[158:159], a[126:127], v[140:143]// 000000005A10: D3F3008C 1E32FD9E
	s_waitcnt vmcnt(20)                                        // 000000005A18: BF8C4F74
	s_barrier                                                  // 000000005A1C: BF8A0000
	v_mfma_f32_16x16x32_fp8_fp8 v[144:147], a[160:161], a[64:65], v[144:147]// 000000005A20: D3F30090 1E4281A0
	v_mfma_f32_16x16x32_fp8_fp8 v[144:147], a[162:163], a[66:67], v[144:147]// 000000005A28: D3F30090 1E4285A2
	buffer_load_dwordx4 a[144:147], v78, s[84:87], 0 offen     // 000000005A30: E05C1000 8095904E
	v_mfma_f32_16x16x32_fp8_fp8 v[144:147], a[164:165], a[68:69], v[144:147]// 000000005A38: D3F30090 1E4289A4
	v_mfma_f32_16x16x32_fp8_fp8 v[144:147], a[166:167], a[70:71], v[144:147]// 000000005A40: D3F30090 1E428DA6
	ds_read_b128 a[0:3], v2                                    // 000000005A48: DBFE0000 00000002
	ds_read_b128 a[4:7], v2 offset:64                          // 000000005A50: DBFE0040 04000002
	v_mfma_f32_16x16x32_fp8_fp8 v[176:179], a[168:169], a[64:65], v[176:179]// 000000005A58: D3F300B0 1EC281A8
	v_mfma_f32_16x16x32_fp8_fp8 v[176:179], a[170:171], a[66:67], v[176:179]// 000000005A60: D3F300B0 1EC285AA
	buffer_load_dwordx4 a[148:151], v78, s[84:87], 0 offen offset:1024// 000000005A68: E05C1400 8095944E
	v_mfma_f32_16x16x32_fp8_fp8 v[176:179], a[172:173], a[68:69], v[176:179]// 000000005A70: D3F300B0 1EC289AC
	v_mfma_f32_16x16x32_fp8_fp8 v[176:179], a[174:175], a[70:71], v[176:179]// 000000005A78: D3F300B0 1EC28DAE
	ds_read_b128 a[8:11], v2 offset:512                        // 000000005A80: DBFE0200 08000002
	ds_read_b128 a[12:15], v2 offset:576                       // 000000005A88: DBFE0240 0C000002
	v_mfma_f32_16x16x32_fp8_fp8 v[148:151], a[160:161], a[72:73], v[148:151]// 000000005A90: D3F30094 1E5291A0
	v_mfma_f32_16x16x32_fp8_fp8 v[148:151], a[162:163], a[74:75], v[148:151]// 000000005A98: D3F30094 1E5295A2
	buffer_load_dwordx4 a[152:155], v79, s[84:87], 0 offen     // 000000005AA0: E05C1000 8095984F
	v_mfma_f32_16x16x32_fp8_fp8 v[148:151], a[164:165], a[76:77], v[148:151]// 000000005AA8: D3F30094 1E5299A4
	v_mfma_f32_16x16x32_fp8_fp8 v[148:151], a[166:167], a[78:79], v[148:151]// 000000005AB0: D3F30094 1E529DA6
	ds_read_b128 a[16:19], v2 offset:1024                      // 000000005AB8: DBFE0400 10000002
	ds_read_b128 a[20:23], v2 offset:1088                      // 000000005AC0: DBFE0440 14000002
	v_mfma_f32_16x16x32_fp8_fp8 v[180:183], a[168:169], a[72:73], v[180:183]// 000000005AC8: D3F300B4 1ED291A8
	v_mfma_f32_16x16x32_fp8_fp8 v[180:183], a[170:171], a[74:75], v[180:183]// 000000005AD0: D3F300B4 1ED295AA
	buffer_load_dwordx4 a[156:159], v79, s[84:87], 0 offen offset:1024// 000000005AD8: E05C1400 80959C4F
	v_mfma_f32_16x16x32_fp8_fp8 v[180:183], a[172:173], a[76:77], v[180:183]// 000000005AE0: D3F300B4 1ED299AC
	v_mfma_f32_16x16x32_fp8_fp8 v[180:183], a[174:175], a[78:79], v[180:183]// 000000005AE8: D3F300B4 1ED29DAE
	ds_read_b128 a[24:27], v2 offset:1536                      // 000000005AF0: DBFE0600 18000002
	ds_read_b128 a[28:31], v2 offset:1600                      // 000000005AF8: DBFE0640 1C000002
	v_mfma_f32_16x16x32_fp8_fp8 v[152:155], a[160:161], a[80:81], v[152:155]// 000000005B00: D3F30098 1E62A1A0
	v_mfma_f32_16x16x32_fp8_fp8 v[152:155], a[162:163], a[82:83], v[152:155]// 000000005B08: D3F30098 1E62A5A2
	v_mfma_f32_16x16x32_fp8_fp8 v[152:155], a[164:165], a[84:85], v[152:155]// 000000005B10: D3F30098 1E62A9A4
	v_mfma_f32_16x16x32_fp8_fp8 v[152:155], a[166:167], a[86:87], v[152:155]// 000000005B18: D3F30098 1E62ADA6
	ds_read_b128 a[32:35], v2 offset:2048                      // 000000005B20: DBFE0800 20000002
	ds_read_b128 a[36:39], v2 offset:2112                      // 000000005B28: DBFE0840 24000002
	v_mfma_f32_16x16x32_fp8_fp8 v[184:187], a[168:169], a[80:81], v[184:187]// 000000005B30: D3F300B8 1EE2A1A8
	v_mfma_f32_16x16x32_fp8_fp8 v[184:187], a[170:171], a[82:83], v[184:187]// 000000005B38: D3F300B8 1EE2A5AA
	v_mfma_f32_16x16x32_fp8_fp8 v[184:187], a[172:173], a[84:85], v[184:187]// 000000005B40: D3F300B8 1EE2A9AC
	v_mfma_f32_16x16x32_fp8_fp8 v[184:187], a[174:175], a[86:87], v[184:187]// 000000005B48: D3F300B8 1EE2ADAE
	ds_read_b128 a[40:43], v2 offset:2560                      // 000000005B50: DBFE0A00 28000002
	ds_read_b128 a[44:47], v2 offset:2624                      // 000000005B58: DBFE0A40 2C000002
	v_mfma_f32_16x16x32_fp8_fp8 v[156:159], a[160:161], a[88:89], v[156:159]// 000000005B60: D3F3009C 1E72B1A0
	v_mfma_f32_16x16x32_fp8_fp8 v[156:159], a[162:163], a[90:91], v[156:159]// 000000005B68: D3F3009C 1E72B5A2
	v_mfma_f32_16x16x32_fp8_fp8 v[156:159], a[164:165], a[92:93], v[156:159]// 000000005B70: D3F3009C 1E72B9A4
	v_mfma_f32_16x16x32_fp8_fp8 v[156:159], a[166:167], a[94:95], v[156:159]// 000000005B78: D3F3009C 1E72BDA6
	ds_read_b128 a[48:51], v2 offset:3072                      // 000000005B80: DBFE0C00 30000002
	ds_read_b128 a[52:55], v2 offset:3136                      // 000000005B88: DBFE0C40 34000002
	v_mfma_f32_16x16x32_fp8_fp8 v[188:191], a[168:169], a[88:89], v[188:191]// 000000005B90: D3F300BC 1EF2B1A8
	v_mfma_f32_16x16x32_fp8_fp8 v[188:191], a[170:171], a[90:91], v[188:191]// 000000005B98: D3F300BC 1EF2B5AA
	v_mfma_f32_16x16x32_fp8_fp8 v[188:191], a[172:173], a[92:93], v[188:191]// 000000005BA0: D3F300BC 1EF2B9AC
	v_mfma_f32_16x16x32_fp8_fp8 v[188:191], a[174:175], a[94:95], v[188:191]// 000000005BA8: D3F300BC 1EF2BDAE
	ds_read_b128 a[56:59], v2 offset:3584                      // 000000005BB0: DBFE0E00 38000002
	ds_read_b128 a[60:63], v2 offset:3648                      // 000000005BB8: DBFE0E40 3C000002
	v_mfma_f32_16x16x32_fp8_fp8 v[160:163], a[160:161], a[96:97], v[160:163]// 000000005BC0: D3F300A0 1E82C1A0
	v_mfma_f32_16x16x32_fp8_fp8 v[160:163], a[162:163], a[98:99], v[160:163]// 000000005BC8: D3F300A0 1E82C5A2
	v_mfma_f32_16x16x32_fp8_fp8 v[160:163], a[164:165], a[100:101], v[160:163]// 000000005BD0: D3F300A0 1E82C9A4
	v_mfma_f32_16x16x32_fp8_fp8 v[160:163], a[166:167], a[102:103], v[160:163]// 000000005BD8: D3F300A0 1E82CDA6
	v_mfma_f32_16x16x32_fp8_fp8 v[192:195], a[168:169], a[96:97], v[192:195]// 000000005BE0: D3F300C0 1F02C1A8
	v_mfma_f32_16x16x32_fp8_fp8 v[192:195], a[170:171], a[98:99], v[192:195]// 000000005BE8: D3F300C0 1F02C5AA
	v_mfma_f32_16x16x32_fp8_fp8 v[192:195], a[172:173], a[100:101], v[192:195]// 000000005BF0: D3F300C0 1F02C9AC
	v_mfma_f32_16x16x32_fp8_fp8 v[192:195], a[174:175], a[102:103], v[192:195]// 000000005BF8: D3F300C0 1F02CDAE
	v_mfma_f32_16x16x32_fp8_fp8 v[164:167], a[160:161], a[104:105], v[164:167]// 000000005C00: D3F300A4 1E92D1A0
	v_mfma_f32_16x16x32_fp8_fp8 v[164:167], a[162:163], a[106:107], v[164:167]// 000000005C08: D3F300A4 1E92D5A2
	v_mfma_f32_16x16x32_fp8_fp8 v[164:167], a[164:165], a[108:109], v[164:167]// 000000005C10: D3F300A4 1E92D9A4
	v_mfma_f32_16x16x32_fp8_fp8 v[164:167], a[166:167], a[110:111], v[164:167]// 000000005C18: D3F300A4 1E92DDA6
	v_mfma_f32_16x16x32_fp8_fp8 v[196:199], a[168:169], a[104:105], v[196:199]// 000000005C20: D3F300C4 1F12D1A8
	v_mfma_f32_16x16x32_fp8_fp8 v[196:199], a[170:171], a[106:107], v[196:199]// 000000005C28: D3F300C4 1F12D5AA
	v_mfma_f32_16x16x32_fp8_fp8 v[196:199], a[172:173], a[108:109], v[196:199]// 000000005C30: D3F300C4 1F12D9AC
	v_mfma_f32_16x16x32_fp8_fp8 v[196:199], a[174:175], a[110:111], v[196:199]// 000000005C38: D3F300C4 1F12DDAE
	v_mfma_f32_16x16x32_fp8_fp8 v[168:171], a[160:161], a[112:113], v[168:171]// 000000005C40: D3F300A8 1EA2E1A0
	v_mfma_f32_16x16x32_fp8_fp8 v[168:171], a[162:163], a[114:115], v[168:171]// 000000005C48: D3F300A8 1EA2E5A2
	v_mfma_f32_16x16x32_fp8_fp8 v[168:171], a[164:165], a[116:117], v[168:171]// 000000005C50: D3F300A8 1EA2E9A4
	v_mfma_f32_16x16x32_fp8_fp8 v[168:171], a[166:167], a[118:119], v[168:171]// 000000005C58: D3F300A8 1EA2EDA6
	v_mfma_f32_16x16x32_fp8_fp8 v[200:203], a[168:169], a[112:113], v[200:203]// 000000005C60: D3F300C8 1F22E1A8
	v_mfma_f32_16x16x32_fp8_fp8 v[200:203], a[170:171], a[114:115], v[200:203]// 000000005C68: D3F300C8 1F22E5AA
	v_mfma_f32_16x16x32_fp8_fp8 v[200:203], a[172:173], a[116:117], v[200:203]// 000000005C70: D3F300C8 1F22E9AC
	v_mfma_f32_16x16x32_fp8_fp8 v[200:203], a[174:175], a[118:119], v[200:203]// 000000005C78: D3F300C8 1F22EDAE
	v_mfma_f32_16x16x32_fp8_fp8 v[172:175], a[160:161], a[120:121], v[172:175]// 000000005C80: D3F300AC 1EB2F1A0
	s_add_u32 s60, 0x180, s80                                  // 000000005C88: 803C50FF 00000180
	s_cmp_lt_u32 s60, s81                                      // 000000005C90: BF0A513C
	s_cselect_b32 s57, s57, 0                                  // 000000005C94: 85398039
	v_mfma_f32_16x16x32_fp8_fp8 v[172:175], a[162:163], a[122:123], v[172:175]// 000000005C98: D3F300AC 1EB2F5A2
	s_add_u32 s60, 0x100, s80                                  // 000000005CA0: 803C50FF 00000100
	s_cmp_lt_u32 s60, s81                                      // 000000005CA8: BF0A513C
	s_cselect_b32 s58, s58, 0                                  // 000000005CAC: 853A803A
	v_mfma_f32_16x16x32_fp8_fp8 v[172:175], a[164:165], a[124:125], v[172:175]// 000000005CB0: D3F300AC 1EB2F9A4
	s_add_u32 s60, 0x100, s80                                  // 000000005CB8: 803C50FF 00000100
	s_cmp_lt_u32 s60, s81                                      // 000000005CC0: BF0A513C
	s_cselect_b32 s83, s83, 0                                  // 000000005CC4: 85538053
	v_mfma_f32_16x16x32_fp8_fp8 v[172:175], a[166:167], a[126:127], v[172:175]// 000000005CC8: D3F300AC 1EB2FDA6
	s_add_u32 s24, s58, s24                                    // 000000005CD0: 8018183A
	s_addc_u32 s25, 0, s25                                     // 000000005CD4: 82191980
	v_mfma_f32_16x16x32_fp8_fp8 v[204:207], a[168:169], a[120:121], v[204:207]// 000000005CD8: D3F300CC 1F32F1A8
	s_add_u32 s20, s57, s20                                    // 000000005CE0: 80141439
	s_addc_u32 s21, 0, s21                                     // 000000005CE4: 82151580
	v_mfma_f32_16x16x32_fp8_fp8 v[204:207], a[170:171], a[122:123], v[204:207]// 000000005CE8: D3F300CC 1F32F5AA
	s_add_u32 s84, s83, s84                                    // 000000005CF0: 80545453
	s_addc_u32 s85, 0, s85                                     // 000000005CF4: 82555580
	v_mfma_f32_16x16x32_fp8_fp8 v[204:207], a[172:173], a[124:125], v[204:207]// 000000005CF8: D3F300CC 1F32F9AC
	v_mfma_f32_16x16x32_fp8_fp8 v[204:207], a[174:175], a[126:127], v[204:207]// 000000005D00: D3F300CC 1F32FDAE
	s_addk_i32 s80, 0x80                                       // 000000005D08: B7500080
	s_cmp_lt_i32 s80, s81                                      // 000000005D0C: BF045150
	s_cbranch_scc0 label_0CC6                                  // 000000005D10: BF840001
	s_branch label_039B                                        // 000000005D14: BF82F6D5

0000000000005d18 <label_0CC6>:
	v_mul_f32_dpp v80, v24, v80 row_newbcast:0 row_mask:0xf bank_mask:0xf// 000000005D18: 0AA0A0FA FF015018
	v_mul_f32_dpp v81, v24, v81 row_newbcast:1 row_mask:0xf bank_mask:0xf// 000000005D20: 0AA2A2FA FF015118
	v_mul_f32_dpp v82, v24, v82 row_newbcast:2 row_mask:0xf bank_mask:0xf// 000000005D28: 0AA4A4FA FF015218
	v_mul_f32_dpp v83, v24, v83 row_newbcast:3 row_mask:0xf bank_mask:0xf// 000000005D30: 0AA6A6FA FF015318
	v_mul_f32_dpp v84, v24, v84 row_newbcast:0 row_mask:0xf bank_mask:0xf// 000000005D38: 0AA8A8FA FF015018
	v_mul_f32_dpp v85, v24, v85 row_newbcast:1 row_mask:0xf bank_mask:0xf// 000000005D40: 0AAAAAFA FF015118
	v_mul_f32_dpp v86, v24, v86 row_newbcast:2 row_mask:0xf bank_mask:0xf// 000000005D48: 0AACACFA FF015218
	v_mul_f32_dpp v87, v24, v87 row_newbcast:3 row_mask:0xf bank_mask:0xf// 000000005D50: 0AAEAEFA FF015318
	v_mul_f32_dpp v88, v24, v88 row_newbcast:0 row_mask:0xf bank_mask:0xf// 000000005D58: 0AB0B0FA FF015018
	v_mul_f32_dpp v89, v24, v89 row_newbcast:1 row_mask:0xf bank_mask:0xf// 000000005D60: 0AB2B2FA FF015118
	v_mul_f32_dpp v90, v24, v90 row_newbcast:2 row_mask:0xf bank_mask:0xf// 000000005D68: 0AB4B4FA FF015218
	v_mul_f32_dpp v91, v24, v91 row_newbcast:3 row_mask:0xf bank_mask:0xf// 000000005D70: 0AB6B6FA FF015318
	v_mul_f32_dpp v92, v24, v92 row_newbcast:0 row_mask:0xf bank_mask:0xf// 000000005D78: 0AB8B8FA FF015018
	v_mul_f32_dpp v93, v24, v93 row_newbcast:1 row_mask:0xf bank_mask:0xf// 000000005D80: 0ABABAFA FF015118
	v_mul_f32_dpp v94, v24, v94 row_newbcast:2 row_mask:0xf bank_mask:0xf// 000000005D88: 0ABCBCFA FF015218
	v_mul_f32_dpp v95, v24, v95 row_newbcast:3 row_mask:0xf bank_mask:0xf// 000000005D90: 0ABEBEFA FF015318
	v_mul_f32_dpp v96, v24, v96 row_newbcast:0 row_mask:0xf bank_mask:0xf// 000000005D98: 0AC0C0FA FF015018
	v_mul_f32_dpp v97, v24, v97 row_newbcast:1 row_mask:0xf bank_mask:0xf// 000000005DA0: 0AC2C2FA FF015118
	v_mul_f32_dpp v98, v24, v98 row_newbcast:2 row_mask:0xf bank_mask:0xf// 000000005DA8: 0AC4C4FA FF015218
	v_mul_f32_dpp v99, v24, v99 row_newbcast:3 row_mask:0xf bank_mask:0xf// 000000005DB0: 0AC6C6FA FF015318
	v_mul_f32_dpp v100, v24, v100 row_newbcast:0 row_mask:0xf bank_mask:0xf// 000000005DB8: 0AC8C8FA FF015018
	v_mul_f32_dpp v101, v24, v101 row_newbcast:1 row_mask:0xf bank_mask:0xf// 000000005DC0: 0ACACAFA FF015118
	v_mul_f32_dpp v102, v24, v102 row_newbcast:2 row_mask:0xf bank_mask:0xf// 000000005DC8: 0ACCCCFA FF015218
	v_mul_f32_dpp v103, v24, v103 row_newbcast:3 row_mask:0xf bank_mask:0xf// 000000005DD0: 0ACECEFA FF015318
	v_mul_f32_dpp v104, v24, v104 row_newbcast:0 row_mask:0xf bank_mask:0xf// 000000005DD8: 0AD0D0FA FF015018
	v_mul_f32_dpp v105, v24, v105 row_newbcast:1 row_mask:0xf bank_mask:0xf// 000000005DE0: 0AD2D2FA FF015118
	v_mul_f32_dpp v106, v24, v106 row_newbcast:2 row_mask:0xf bank_mask:0xf// 000000005DE8: 0AD4D4FA FF015218
	v_mul_f32_dpp v107, v24, v107 row_newbcast:3 row_mask:0xf bank_mask:0xf// 000000005DF0: 0AD6D6FA FF015318
	v_mul_f32_dpp v108, v24, v108 row_newbcast:0 row_mask:0xf bank_mask:0xf// 000000005DF8: 0AD8D8FA FF015018
	v_mul_f32_dpp v109, v24, v109 row_newbcast:1 row_mask:0xf bank_mask:0xf// 000000005E00: 0ADADAFA FF015118
	v_mul_f32_dpp v110, v24, v110 row_newbcast:2 row_mask:0xf bank_mask:0xf// 000000005E08: 0ADCDCFA FF015218
	v_mul_f32_dpp v111, v24, v111 row_newbcast:3 row_mask:0xf bank_mask:0xf// 000000005E10: 0ADEDEFA FF015318
	v_mul_f32_dpp v112, v24, v112 row_newbcast:4 row_mask:0xf bank_mask:0xf// 000000005E18: 0AE0E0FA FF015418
	v_mul_f32_dpp v113, v24, v113 row_newbcast:5 row_mask:0xf bank_mask:0xf// 000000005E20: 0AE2E2FA FF015518
	v_mul_f32_dpp v114, v24, v114 row_newbcast:6 row_mask:0xf bank_mask:0xf// 000000005E28: 0AE4E4FA FF015618
	v_mul_f32_dpp v115, v24, v115 row_newbcast:7 row_mask:0xf bank_mask:0xf// 000000005E30: 0AE6E6FA FF015718
	v_mul_f32_dpp v116, v24, v116 row_newbcast:4 row_mask:0xf bank_mask:0xf// 000000005E38: 0AE8E8FA FF015418
	v_mul_f32_dpp v117, v24, v117 row_newbcast:5 row_mask:0xf bank_mask:0xf// 000000005E40: 0AEAEAFA FF015518
	v_mul_f32_dpp v118, v24, v118 row_newbcast:6 row_mask:0xf bank_mask:0xf// 000000005E48: 0AECECFA FF015618
	v_mul_f32_dpp v119, v24, v119 row_newbcast:7 row_mask:0xf bank_mask:0xf// 000000005E50: 0AEEEEFA FF015718
	v_mul_f32_dpp v120, v24, v120 row_newbcast:4 row_mask:0xf bank_mask:0xf// 000000005E58: 0AF0F0FA FF015418
	v_mul_f32_dpp v121, v24, v121 row_newbcast:5 row_mask:0xf bank_mask:0xf// 000000005E60: 0AF2F2FA FF015518
	v_mul_f32_dpp v122, v24, v122 row_newbcast:6 row_mask:0xf bank_mask:0xf// 000000005E68: 0AF4F4FA FF015618
	v_mul_f32_dpp v123, v24, v123 row_newbcast:7 row_mask:0xf bank_mask:0xf// 000000005E70: 0AF6F6FA FF015718
	v_mul_f32_dpp v124, v24, v124 row_newbcast:4 row_mask:0xf bank_mask:0xf// 000000005E78: 0AF8F8FA FF015418
	v_mul_f32_dpp v125, v24, v125 row_newbcast:5 row_mask:0xf bank_mask:0xf// 000000005E80: 0AFAFAFA FF015518
	v_mul_f32_dpp v126, v24, v126 row_newbcast:6 row_mask:0xf bank_mask:0xf// 000000005E88: 0AFCFCFA FF015618
	v_mul_f32_dpp v127, v24, v127 row_newbcast:7 row_mask:0xf bank_mask:0xf// 000000005E90: 0AFEFEFA FF015718
	v_mul_f32_dpp v128, v24, v128 row_newbcast:4 row_mask:0xf bank_mask:0xf// 000000005E98: 0B0100FA FF015418
	v_mul_f32_dpp v129, v24, v129 row_newbcast:5 row_mask:0xf bank_mask:0xf// 000000005EA0: 0B0302FA FF015518
	v_mul_f32_dpp v130, v24, v130 row_newbcast:6 row_mask:0xf bank_mask:0xf// 000000005EA8: 0B0504FA FF015618
	v_mul_f32_dpp v131, v24, v131 row_newbcast:7 row_mask:0xf bank_mask:0xf// 000000005EB0: 0B0706FA FF015718
	v_mul_f32_dpp v132, v24, v132 row_newbcast:4 row_mask:0xf bank_mask:0xf// 000000005EB8: 0B0908FA FF015418
	v_mul_f32_dpp v133, v24, v133 row_newbcast:5 row_mask:0xf bank_mask:0xf// 000000005EC0: 0B0B0AFA FF015518
	v_mul_f32_dpp v134, v24, v134 row_newbcast:6 row_mask:0xf bank_mask:0xf// 000000005EC8: 0B0D0CFA FF015618
	v_mul_f32_dpp v135, v24, v135 row_newbcast:7 row_mask:0xf bank_mask:0xf// 000000005ED0: 0B0F0EFA FF015718
	v_mul_f32_dpp v136, v24, v136 row_newbcast:4 row_mask:0xf bank_mask:0xf// 000000005ED8: 0B1110FA FF015418
	v_mul_f32_dpp v137, v24, v137 row_newbcast:5 row_mask:0xf bank_mask:0xf// 000000005EE0: 0B1312FA FF015518
	v_mul_f32_dpp v138, v24, v138 row_newbcast:6 row_mask:0xf bank_mask:0xf// 000000005EE8: 0B1514FA FF015618
	v_mul_f32_dpp v139, v24, v139 row_newbcast:7 row_mask:0xf bank_mask:0xf// 000000005EF0: 0B1716FA FF015718
	v_mul_f32_dpp v140, v24, v140 row_newbcast:4 row_mask:0xf bank_mask:0xf// 000000005EF8: 0B1918FA FF015418
	v_mul_f32_dpp v141, v24, v141 row_newbcast:5 row_mask:0xf bank_mask:0xf// 000000005F00: 0B1B1AFA FF015518
	v_mul_f32_dpp v142, v24, v142 row_newbcast:6 row_mask:0xf bank_mask:0xf// 000000005F08: 0B1D1CFA FF015618
	v_mul_f32_dpp v143, v24, v143 row_newbcast:7 row_mask:0xf bank_mask:0xf// 000000005F10: 0B1F1EFA FF015718
	v_mul_f32_dpp v144, v27, v144 row_newbcast:0 row_mask:0xf bank_mask:0xf// 000000005F18: 0B2120FA FF01501B
	v_mul_f32_dpp v145, v27, v145 row_newbcast:1 row_mask:0xf bank_mask:0xf// 000000005F20: 0B2322FA FF01511B
	v_mul_f32_dpp v146, v27, v146 row_newbcast:2 row_mask:0xf bank_mask:0xf// 000000005F28: 0B2524FA FF01521B
	v_mul_f32_dpp v147, v27, v147 row_newbcast:3 row_mask:0xf bank_mask:0xf// 000000005F30: 0B2726FA FF01531B
	v_mul_f32_dpp v148, v27, v148 row_newbcast:0 row_mask:0xf bank_mask:0xf// 000000005F38: 0B2928FA FF01501B
	v_mul_f32_dpp v149, v27, v149 row_newbcast:1 row_mask:0xf bank_mask:0xf// 000000005F40: 0B2B2AFA FF01511B
	v_mul_f32_dpp v150, v27, v150 row_newbcast:2 row_mask:0xf bank_mask:0xf// 000000005F48: 0B2D2CFA FF01521B
	v_mul_f32_dpp v151, v27, v151 row_newbcast:3 row_mask:0xf bank_mask:0xf// 000000005F50: 0B2F2EFA FF01531B
	v_mul_f32_dpp v152, v27, v152 row_newbcast:0 row_mask:0xf bank_mask:0xf// 000000005F58: 0B3130FA FF01501B
	v_mul_f32_dpp v153, v27, v153 row_newbcast:1 row_mask:0xf bank_mask:0xf// 000000005F60: 0B3332FA FF01511B
	v_mul_f32_dpp v154, v27, v154 row_newbcast:2 row_mask:0xf bank_mask:0xf// 000000005F68: 0B3534FA FF01521B
	v_mul_f32_dpp v155, v27, v155 row_newbcast:3 row_mask:0xf bank_mask:0xf// 000000005F70: 0B3736FA FF01531B
	v_mul_f32_dpp v156, v27, v156 row_newbcast:0 row_mask:0xf bank_mask:0xf// 000000005F78: 0B3938FA FF01501B
	v_mul_f32_dpp v157, v27, v157 row_newbcast:1 row_mask:0xf bank_mask:0xf// 000000005F80: 0B3B3AFA FF01511B
	v_mul_f32_dpp v158, v27, v158 row_newbcast:2 row_mask:0xf bank_mask:0xf// 000000005F88: 0B3D3CFA FF01521B
	v_mul_f32_dpp v159, v27, v159 row_newbcast:3 row_mask:0xf bank_mask:0xf// 000000005F90: 0B3F3EFA FF01531B
	v_mul_f32_dpp v160, v27, v160 row_newbcast:0 row_mask:0xf bank_mask:0xf// 000000005F98: 0B4140FA FF01501B
	v_mul_f32_dpp v161, v27, v161 row_newbcast:1 row_mask:0xf bank_mask:0xf// 000000005FA0: 0B4342FA FF01511B
	v_mul_f32_dpp v162, v27, v162 row_newbcast:2 row_mask:0xf bank_mask:0xf// 000000005FA8: 0B4544FA FF01521B
	v_mul_f32_dpp v163, v27, v163 row_newbcast:3 row_mask:0xf bank_mask:0xf// 000000005FB0: 0B4746FA FF01531B
	v_mul_f32_dpp v164, v27, v164 row_newbcast:0 row_mask:0xf bank_mask:0xf// 000000005FB8: 0B4948FA FF01501B
	v_mul_f32_dpp v165, v27, v165 row_newbcast:1 row_mask:0xf bank_mask:0xf// 000000005FC0: 0B4B4AFA FF01511B
	v_mul_f32_dpp v166, v27, v166 row_newbcast:2 row_mask:0xf bank_mask:0xf// 000000005FC8: 0B4D4CFA FF01521B
	v_mul_f32_dpp v167, v27, v167 row_newbcast:3 row_mask:0xf bank_mask:0xf// 000000005FD0: 0B4F4EFA FF01531B
	v_mul_f32_dpp v168, v27, v168 row_newbcast:0 row_mask:0xf bank_mask:0xf// 000000005FD8: 0B5150FA FF01501B
	v_mul_f32_dpp v169, v27, v169 row_newbcast:1 row_mask:0xf bank_mask:0xf// 000000005FE0: 0B5352FA FF01511B
	v_mul_f32_dpp v170, v27, v170 row_newbcast:2 row_mask:0xf bank_mask:0xf// 000000005FE8: 0B5554FA FF01521B
	v_mul_f32_dpp v171, v27, v171 row_newbcast:3 row_mask:0xf bank_mask:0xf// 000000005FF0: 0B5756FA FF01531B
	v_mul_f32_dpp v172, v27, v172 row_newbcast:0 row_mask:0xf bank_mask:0xf// 000000005FF8: 0B5958FA FF01501B
	v_mul_f32_dpp v173, v27, v173 row_newbcast:1 row_mask:0xf bank_mask:0xf// 000000006000: 0B5B5AFA FF01511B
	v_mul_f32_dpp v174, v27, v174 row_newbcast:2 row_mask:0xf bank_mask:0xf// 000000006008: 0B5D5CFA FF01521B
	v_mul_f32_dpp v175, v27, v175 row_newbcast:3 row_mask:0xf bank_mask:0xf// 000000006010: 0B5F5EFA FF01531B
	v_mul_f32_dpp v176, v27, v176 row_newbcast:4 row_mask:0xf bank_mask:0xf// 000000006018: 0B6160FA FF01541B
	v_mul_f32_dpp v177, v27, v177 row_newbcast:5 row_mask:0xf bank_mask:0xf// 000000006020: 0B6362FA FF01551B
	v_mul_f32_dpp v178, v27, v178 row_newbcast:6 row_mask:0xf bank_mask:0xf// 000000006028: 0B6564FA FF01561B
	v_mul_f32_dpp v179, v27, v179 row_newbcast:7 row_mask:0xf bank_mask:0xf// 000000006030: 0B6766FA FF01571B
	v_mul_f32_dpp v180, v27, v180 row_newbcast:4 row_mask:0xf bank_mask:0xf// 000000006038: 0B6968FA FF01541B
	v_mul_f32_dpp v181, v27, v181 row_newbcast:5 row_mask:0xf bank_mask:0xf// 000000006040: 0B6B6AFA FF01551B
	v_mul_f32_dpp v182, v27, v182 row_newbcast:6 row_mask:0xf bank_mask:0xf// 000000006048: 0B6D6CFA FF01561B
	v_mul_f32_dpp v183, v27, v183 row_newbcast:7 row_mask:0xf bank_mask:0xf// 000000006050: 0B6F6EFA FF01571B
	v_mul_f32_dpp v184, v27, v184 row_newbcast:4 row_mask:0xf bank_mask:0xf// 000000006058: 0B7170FA FF01541B
	v_mul_f32_dpp v185, v27, v185 row_newbcast:5 row_mask:0xf bank_mask:0xf// 000000006060: 0B7372FA FF01551B
	v_mul_f32_dpp v186, v27, v186 row_newbcast:6 row_mask:0xf bank_mask:0xf// 000000006068: 0B7574FA FF01561B
	v_mul_f32_dpp v187, v27, v187 row_newbcast:7 row_mask:0xf bank_mask:0xf// 000000006070: 0B7776FA FF01571B
	v_mul_f32_dpp v188, v27, v188 row_newbcast:4 row_mask:0xf bank_mask:0xf// 000000006078: 0B7978FA FF01541B
	v_mul_f32_dpp v189, v27, v189 row_newbcast:5 row_mask:0xf bank_mask:0xf// 000000006080: 0B7B7AFA FF01551B
	v_mul_f32_dpp v190, v27, v190 row_newbcast:6 row_mask:0xf bank_mask:0xf// 000000006088: 0B7D7CFA FF01561B
	v_mul_f32_dpp v191, v27, v191 row_newbcast:7 row_mask:0xf bank_mask:0xf// 000000006090: 0B7F7EFA FF01571B
	v_mul_f32_dpp v192, v27, v192 row_newbcast:4 row_mask:0xf bank_mask:0xf// 000000006098: 0B8180FA FF01541B
	v_mul_f32_dpp v193, v27, v193 row_newbcast:5 row_mask:0xf bank_mask:0xf// 0000000060A0: 0B8382FA FF01551B
	v_mul_f32_dpp v194, v27, v194 row_newbcast:6 row_mask:0xf bank_mask:0xf// 0000000060A8: 0B8584FA FF01561B
	v_mul_f32_dpp v195, v27, v195 row_newbcast:7 row_mask:0xf bank_mask:0xf// 0000000060B0: 0B8786FA FF01571B
	v_mul_f32_dpp v196, v27, v196 row_newbcast:4 row_mask:0xf bank_mask:0xf// 0000000060B8: 0B8988FA FF01541B
	v_mul_f32_dpp v197, v27, v197 row_newbcast:5 row_mask:0xf bank_mask:0xf// 0000000060C0: 0B8B8AFA FF01551B
	v_mul_f32_dpp v198, v27, v198 row_newbcast:6 row_mask:0xf bank_mask:0xf// 0000000060C8: 0B8D8CFA FF01561B
	v_mul_f32_dpp v199, v27, v199 row_newbcast:7 row_mask:0xf bank_mask:0xf// 0000000060D0: 0B8F8EFA FF01571B
	v_mul_f32_dpp v200, v27, v200 row_newbcast:4 row_mask:0xf bank_mask:0xf// 0000000060D8: 0B9190FA FF01541B
	v_mul_f32_dpp v201, v27, v201 row_newbcast:5 row_mask:0xf bank_mask:0xf// 0000000060E0: 0B9392FA FF01551B
	v_mul_f32_dpp v202, v27, v202 row_newbcast:6 row_mask:0xf bank_mask:0xf// 0000000060E8: 0B9594FA FF01561B
	v_mul_f32_dpp v203, v27, v203 row_newbcast:7 row_mask:0xf bank_mask:0xf// 0000000060F0: 0B9796FA FF01571B
	v_mul_f32_dpp v204, v27, v204 row_newbcast:4 row_mask:0xf bank_mask:0xf// 0000000060F8: 0B9998FA FF01541B
	v_mul_f32_dpp v205, v27, v205 row_newbcast:5 row_mask:0xf bank_mask:0xf// 000000006100: 0B9B9AFA FF01551B
	v_mul_f32_dpp v206, v27, v206 row_newbcast:6 row_mask:0xf bank_mask:0xf// 000000006108: 0B9D9CFA FF01561B
	v_mul_f32_dpp v207, v27, v207 row_newbcast:7 row_mask:0xf bank_mask:0xf// 000000006110: 0B9F9EFA FF01571B
	v_mov_b32_e32 v4, v38                                      // 000000006118: 7E080326
	v_mov_b32_e32 v5, v4                                       // 00000000611C: 7E0A0304
	v_pk_mul_f32 v[80:81], v[4:5], v[80:81]                    // 000000006120: D3B14050 1802A104
	v_pk_mul_f32 v[144:145], v[4:5], v[144:145]                // 000000006128: D3B14090 18032104
	v_pk_mul_f32 v[82:83], v[4:5], v[82:83]                    // 000000006130: D3B14052 1802A504
	v_pk_mul_f32 v[146:147], v[4:5], v[146:147]                // 000000006138: D3B14092 18032504
	v_pk_mul_f32 v[112:113], v[4:5], v[112:113]                // 000000006140: D3B14070 1802E104
	v_pk_mul_f32 v[176:177], v[4:5], v[176:177]                // 000000006148: D3B140B0 18036104
	v_pk_mul_f32 v[114:115], v[4:5], v[114:115]                // 000000006150: D3B14072 1802E504
	v_pk_mul_f32 v[178:179], v[4:5], v[178:179]                // 000000006158: D3B140B2 18036504
	v_mov_b32_e32 v4, v39                                      // 000000006160: 7E080327
	v_mov_b32_e32 v5, v4                                       // 000000006164: 7E0A0304
	v_pk_mul_f32 v[84:85], v[4:5], v[84:85]                    // 000000006168: D3B14054 1802A904
	v_pk_mul_f32 v[148:149], v[4:5], v[148:149]                // 000000006170: D3B14094 18032904
	v_pk_mul_f32 v[86:87], v[4:5], v[86:87]                    // 000000006178: D3B14056 1802AD04
	v_pk_mul_f32 v[150:151], v[4:5], v[150:151]                // 000000006180: D3B14096 18032D04
	v_pk_mul_f32 v[116:117], v[4:5], v[116:117]                // 000000006188: D3B14074 1802E904
	v_pk_mul_f32 v[180:181], v[4:5], v[180:181]                // 000000006190: D3B140B4 18036904
	v_pk_mul_f32 v[118:119], v[4:5], v[118:119]                // 000000006198: D3B14076 1802ED04
	v_pk_mul_f32 v[182:183], v[4:5], v[182:183]                // 0000000061A0: D3B140B6 18036D04
	v_mov_b32_e32 v4, v40                                      // 0000000061A8: 7E080328
	v_mov_b32_e32 v5, v4                                       // 0000000061AC: 7E0A0304
	v_pk_mul_f32 v[88:89], v[4:5], v[88:89]                    // 0000000061B0: D3B14058 1802B104
	v_pk_mul_f32 v[152:153], v[4:5], v[152:153]                // 0000000061B8: D3B14098 18033104
	v_pk_mul_f32 v[90:91], v[4:5], v[90:91]                    // 0000000061C0: D3B1405A 1802B504
	v_pk_mul_f32 v[154:155], v[4:5], v[154:155]                // 0000000061C8: D3B1409A 18033504
	v_pk_mul_f32 v[120:121], v[4:5], v[120:121]                // 0000000061D0: D3B14078 1802F104
	v_pk_mul_f32 v[184:185], v[4:5], v[184:185]                // 0000000061D8: D3B140B8 18037104
	v_pk_mul_f32 v[122:123], v[4:5], v[122:123]                // 0000000061E0: D3B1407A 1802F504
	v_pk_mul_f32 v[186:187], v[4:5], v[186:187]                // 0000000061E8: D3B140BA 18037504
	v_mov_b32_e32 v4, v41                                      // 0000000061F0: 7E080329
	v_mov_b32_e32 v5, v4                                       // 0000000061F4: 7E0A0304
	v_pk_mul_f32 v[92:93], v[4:5], v[92:93]                    // 0000000061F8: D3B1405C 1802B904
	v_pk_mul_f32 v[156:157], v[4:5], v[156:157]                // 000000006200: D3B1409C 18033904
	v_pk_mul_f32 v[94:95], v[4:5], v[94:95]                    // 000000006208: D3B1405E 1802BD04
	v_pk_mul_f32 v[158:159], v[4:5], v[158:159]                // 000000006210: D3B1409E 18033D04
	v_pk_mul_f32 v[124:125], v[4:5], v[124:125]                // 000000006218: D3B1407C 1802F904
	v_pk_mul_f32 v[188:189], v[4:5], v[188:189]                // 000000006220: D3B140BC 18037904
	v_pk_mul_f32 v[126:127], v[4:5], v[126:127]                // 000000006228: D3B1407E 1802FD04
	v_pk_mul_f32 v[190:191], v[4:5], v[190:191]                // 000000006230: D3B140BE 18037D04
	v_mov_b32_e32 v4, v42                                      // 000000006238: 7E08032A
	v_mov_b32_e32 v5, v4                                       // 00000000623C: 7E0A0304
	v_pk_mul_f32 v[96:97], v[4:5], v[96:97]                    // 000000006240: D3B14060 1802C104
	v_pk_mul_f32 v[160:161], v[4:5], v[160:161]                // 000000006248: D3B140A0 18034104
	v_pk_mul_f32 v[98:99], v[4:5], v[98:99]                    // 000000006250: D3B14062 1802C504
	v_pk_mul_f32 v[162:163], v[4:5], v[162:163]                // 000000006258: D3B140A2 18034504
	v_pk_mul_f32 v[128:129], v[4:5], v[128:129]                // 000000006260: D3B14080 18030104
	v_pk_mul_f32 v[192:193], v[4:5], v[192:193]                // 000000006268: D3B140C0 18038104
	v_pk_mul_f32 v[130:131], v[4:5], v[130:131]                // 000000006270: D3B14082 18030504
	v_pk_mul_f32 v[194:195], v[4:5], v[194:195]                // 000000006278: D3B140C2 18038504
	v_mov_b32_e32 v4, v43                                      // 000000006280: 7E08032B
	v_mov_b32_e32 v5, v4                                       // 000000006284: 7E0A0304
	v_pk_mul_f32 v[100:101], v[4:5], v[100:101]                // 000000006288: D3B14064 1802C904
	v_pk_mul_f32 v[164:165], v[4:5], v[164:165]                // 000000006290: D3B140A4 18034904
	v_pk_mul_f32 v[102:103], v[4:5], v[102:103]                // 000000006298: D3B14066 1802CD04
	v_pk_mul_f32 v[166:167], v[4:5], v[166:167]                // 0000000062A0: D3B140A6 18034D04
	v_pk_mul_f32 v[132:133], v[4:5], v[132:133]                // 0000000062A8: D3B14084 18030904
	v_pk_mul_f32 v[196:197], v[4:5], v[196:197]                // 0000000062B0: D3B140C4 18038904
	v_pk_mul_f32 v[134:135], v[4:5], v[134:135]                // 0000000062B8: D3B14086 18030D04
	v_pk_mul_f32 v[198:199], v[4:5], v[198:199]                // 0000000062C0: D3B140C6 18038D04
	v_mov_b32_e32 v4, v44                                      // 0000000062C8: 7E08032C
	v_mov_b32_e32 v5, v4                                       // 0000000062CC: 7E0A0304
	v_pk_mul_f32 v[104:105], v[4:5], v[104:105]                // 0000000062D0: D3B14068 1802D104
	v_pk_mul_f32 v[168:169], v[4:5], v[168:169]                // 0000000062D8: D3B140A8 18035104
	v_pk_mul_f32 v[106:107], v[4:5], v[106:107]                // 0000000062E0: D3B1406A 1802D504
	v_pk_mul_f32 v[170:171], v[4:5], v[170:171]                // 0000000062E8: D3B140AA 18035504
	v_pk_mul_f32 v[136:137], v[4:5], v[136:137]                // 0000000062F0: D3B14088 18031104
	v_pk_mul_f32 v[200:201], v[4:5], v[200:201]                // 0000000062F8: D3B140C8 18039104
	v_pk_mul_f32 v[138:139], v[4:5], v[138:139]                // 000000006300: D3B1408A 18031504
	v_pk_mul_f32 v[202:203], v[4:5], v[202:203]                // 000000006308: D3B140CA 18039504
	v_mov_b32_e32 v4, v45                                      // 000000006310: 7E08032D
	v_mov_b32_e32 v5, v4                                       // 000000006314: 7E0A0304
	v_pk_mul_f32 v[108:109], v[4:5], v[108:109]                // 000000006318: D3B1406C 1802D904
	v_pk_mul_f32 v[172:173], v[4:5], v[172:173]                // 000000006320: D3B140AC 18035904
	v_pk_mul_f32 v[110:111], v[4:5], v[110:111]                // 000000006328: D3B1406E 1802DD04
	v_pk_mul_f32 v[174:175], v[4:5], v[174:175]                // 000000006330: D3B140AE 18035D04
	v_pk_mul_f32 v[140:141], v[4:5], v[140:141]                // 000000006338: D3B1408C 18031904
	v_pk_mul_f32 v[204:205], v[4:5], v[204:205]                // 000000006340: D3B140CC 18039904
	v_pk_mul_f32 v[142:143], v[4:5], v[142:143]                // 000000006348: D3B1408E 18031D04
	v_pk_mul_f32 v[206:207], v[4:5], v[206:207]                // 000000006350: D3B140CE 18039D04
	s_cmp_eq_u32 s88, 0                                        // 000000006358: BF068058
	s_cbranch_scc0 label_17B9                                  // 00000000635C: BF840961
	s_cmp_eq_u32 s89, 0                                        // 000000006360: BF068059
	s_cbranch_scc1 label_10DF                                  // 000000006364: BF850285
	v_mov_b32_e32 v8, v1                                       // 000000006368: 7E100301
	v_mov_b32_e32 v9, v1                                       // 00000000636C: 7E120301
	s_mov_b32 s60, s6                                          // 000000006370: BEBC0006
	s_mov_b32 s61, s6                                          // 000000006374: BEBD0006
	v_pk_mul_f32 v[4:5], v[80:81], v[80:81]                    // 000000006378: D3B14004 1802A150
	v_pk_mul_f32 v[6:7], v[82:83], v[82:83]                    // 000000006380: D3B14006 1802A552
	v_pk_fma_f32 v[4:5], v[4:5], s[78:79], v[8:9]              // 000000006388: D3B04004 1C209D04
	v_pk_fma_f32 v[6:7], v[6:7], s[78:79], v[8:9]              // 000000006390: D3B04006 1C209D06
	v_pk_mul_f32 v[4:5], v[4:5], v[80:81]                      // 000000006398: D3B14004 1802A104
	v_pk_mul_f32 v[6:7], v[6:7], v[82:83]                      // 0000000063A0: D3B14006 1802A506
	v_pk_mul_f32 v[4:5], v[4:5], s[60:61]                      // 0000000063A8: D3B14004 18007904
	v_pk_mul_f32 v[6:7], v[6:7], s[60:61]                      // 0000000063B0: D3B14006 18007906
	v_exp_f32_e32 v4, v4                                       // 0000000063B8: 7E084104
	v_exp_f32_e32 v5, v5                                       // 0000000063BC: 7E0A4105
	v_exp_f32_e32 v6, v6                                       // 0000000063C0: 7E0C4106
	v_exp_f32_e32 v7, v7                                       // 0000000063C4: 7E0E4107
	v_add_f32_e64 v4, v4, 1.0                                  // 0000000063C8: D1010004 0001E504
	v_add_f32_e64 v5, v5, 1.0                                  // 0000000063D0: D1010005 0001E505
	v_add_f32_e64 v6, v6, 1.0                                  // 0000000063D8: D1010006 0001E506
	v_add_f32_e64 v7, v7, 1.0                                  // 0000000063E0: D1010007 0001E507
	v_rcp_f32_e32 v4, v4                                       // 0000000063E8: 7E084504
	v_rcp_f32_e32 v5, v5                                       // 0000000063EC: 7E0A4505
	v_rcp_f32_e32 v6, v6                                       // 0000000063F0: 7E0C4506
	v_rcp_f32_e32 v7, v7                                       // 0000000063F4: 7E0E4507
	v_mul_f32_e32 v80, v80, v4                                 // 0000000063F8: 0AA00950
	v_mul_f32_e32 v81, v81, v5                                 // 0000000063FC: 0AA20B51
	v_mul_f32_e32 v82, v82, v6                                 // 000000006400: 0AA40D52
	v_mul_f32_e32 v83, v83, v7                                 // 000000006404: 0AA60F53
	v_mul_f32_e32 v80, v80, v144                               // 000000006408: 0AA12150
	v_mul_f32_e32 v81, v81, v145                               // 00000000640C: 0AA32351
	v_mul_f32_e32 v82, v82, v146                               // 000000006410: 0AA52552
	v_mul_f32_e32 v83, v83, v147                               // 000000006414: 0AA72753
	v_pk_mul_f32 v[4:5], v[84:85], v[84:85]                    // 000000006418: D3B14004 1802A954
	v_pk_mul_f32 v[6:7], v[86:87], v[86:87]                    // 000000006420: D3B14006 1802AD56
	v_pk_fma_f32 v[4:5], v[4:5], s[78:79], v[8:9]              // 000000006428: D3B04004 1C209D04
	v_pk_fma_f32 v[6:7], v[6:7], s[78:79], v[8:9]              // 000000006430: D3B04006 1C209D06
	v_pk_mul_f32 v[4:5], v[4:5], v[84:85]                      // 000000006438: D3B14004 1802A904
	v_pk_mul_f32 v[6:7], v[6:7], v[86:87]                      // 000000006440: D3B14006 1802AD06
	v_pk_mul_f32 v[4:5], v[4:5], s[60:61]                      // 000000006448: D3B14004 18007904
	v_pk_mul_f32 v[6:7], v[6:7], s[60:61]                      // 000000006450: D3B14006 18007906
	v_exp_f32_e32 v4, v4                                       // 000000006458: 7E084104
	v_exp_f32_e32 v5, v5                                       // 00000000645C: 7E0A4105
	v_exp_f32_e32 v6, v6                                       // 000000006460: 7E0C4106
	v_exp_f32_e32 v7, v7                                       // 000000006464: 7E0E4107
	v_add_f32_e64 v4, v4, 1.0                                  // 000000006468: D1010004 0001E504
	v_add_f32_e64 v5, v5, 1.0                                  // 000000006470: D1010005 0001E505
	v_add_f32_e64 v6, v6, 1.0                                  // 000000006478: D1010006 0001E506
	v_add_f32_e64 v7, v7, 1.0                                  // 000000006480: D1010007 0001E507
	v_rcp_f32_e32 v4, v4                                       // 000000006488: 7E084504
	v_rcp_f32_e32 v5, v5                                       // 00000000648C: 7E0A4505
	v_rcp_f32_e32 v6, v6                                       // 000000006490: 7E0C4506
	v_rcp_f32_e32 v7, v7                                       // 000000006494: 7E0E4507
	v_mul_f32_e32 v84, v84, v4                                 // 000000006498: 0AA80954
	v_mul_f32_e32 v85, v85, v5                                 // 00000000649C: 0AAA0B55
	v_mul_f32_e32 v86, v86, v6                                 // 0000000064A0: 0AAC0D56
	v_mul_f32_e32 v87, v87, v7                                 // 0000000064A4: 0AAE0F57
	v_mul_f32_e32 v84, v84, v148                               // 0000000064A8: 0AA92954
	v_mul_f32_e32 v85, v85, v149                               // 0000000064AC: 0AAB2B55
	v_mul_f32_e32 v86, v86, v150                               // 0000000064B0: 0AAD2D56
	v_mul_f32_e32 v87, v87, v151                               // 0000000064B4: 0AAF2F57
	v_pk_mul_f32 v[4:5], v[88:89], v[88:89]                    // 0000000064B8: D3B14004 1802B158
	v_pk_mul_f32 v[6:7], v[90:91], v[90:91]                    // 0000000064C0: D3B14006 1802B55A
	v_pk_fma_f32 v[4:5], v[4:5], s[78:79], v[8:9]              // 0000000064C8: D3B04004 1C209D04
	v_pk_fma_f32 v[6:7], v[6:7], s[78:79], v[8:9]              // 0000000064D0: D3B04006 1C209D06
	v_pk_mul_f32 v[4:5], v[4:5], v[88:89]                      // 0000000064D8: D3B14004 1802B104
	v_pk_mul_f32 v[6:7], v[6:7], v[90:91]                      // 0000000064E0: D3B14006 1802B506
	v_pk_mul_f32 v[4:5], v[4:5], s[60:61]                      // 0000000064E8: D3B14004 18007904
	v_pk_mul_f32 v[6:7], v[6:7], s[60:61]                      // 0000000064F0: D3B14006 18007906
	v_exp_f32_e32 v4, v4                                       // 0000000064F8: 7E084104
	v_exp_f32_e32 v5, v5                                       // 0000000064FC: 7E0A4105
	v_exp_f32_e32 v6, v6                                       // 000000006500: 7E0C4106
	v_exp_f32_e32 v7, v7                                       // 000000006504: 7E0E4107
	v_add_f32_e64 v4, v4, 1.0                                  // 000000006508: D1010004 0001E504
	v_add_f32_e64 v5, v5, 1.0                                  // 000000006510: D1010005 0001E505
	v_add_f32_e64 v6, v6, 1.0                                  // 000000006518: D1010006 0001E506
	v_add_f32_e64 v7, v7, 1.0                                  // 000000006520: D1010007 0001E507
	v_rcp_f32_e32 v4, v4                                       // 000000006528: 7E084504
	v_rcp_f32_e32 v5, v5                                       // 00000000652C: 7E0A4505
	v_rcp_f32_e32 v6, v6                                       // 000000006530: 7E0C4506
	v_rcp_f32_e32 v7, v7                                       // 000000006534: 7E0E4507
	v_mul_f32_e32 v88, v88, v4                                 // 000000006538: 0AB00958
	v_mul_f32_e32 v89, v89, v5                                 // 00000000653C: 0AB20B59
	v_mul_f32_e32 v90, v90, v6                                 // 000000006540: 0AB40D5A
	v_mul_f32_e32 v91, v91, v7                                 // 000000006544: 0AB60F5B
	v_mul_f32_e32 v88, v88, v152                               // 000000006548: 0AB13158
	v_mul_f32_e32 v89, v89, v153                               // 00000000654C: 0AB33359
	v_mul_f32_e32 v90, v90, v154                               // 000000006550: 0AB5355A
	v_mul_f32_e32 v91, v91, v155                               // 000000006554: 0AB7375B
	v_pk_mul_f32 v[4:5], v[92:93], v[92:93]                    // 000000006558: D3B14004 1802B95C
	v_pk_mul_f32 v[6:7], v[94:95], v[94:95]                    // 000000006560: D3B14006 1802BD5E
	v_pk_fma_f32 v[4:5], v[4:5], s[78:79], v[8:9]              // 000000006568: D3B04004 1C209D04
	v_pk_fma_f32 v[6:7], v[6:7], s[78:79], v[8:9]              // 000000006570: D3B04006 1C209D06
	v_pk_mul_f32 v[4:5], v[4:5], v[92:93]                      // 000000006578: D3B14004 1802B904
	v_pk_mul_f32 v[6:7], v[6:7], v[94:95]                      // 000000006580: D3B14006 1802BD06
	v_pk_mul_f32 v[4:5], v[4:5], s[60:61]                      // 000000006588: D3B14004 18007904
	v_pk_mul_f32 v[6:7], v[6:7], s[60:61]                      // 000000006590: D3B14006 18007906
	v_exp_f32_e32 v4, v4                                       // 000000006598: 7E084104
	v_exp_f32_e32 v5, v5                                       // 00000000659C: 7E0A4105
	v_exp_f32_e32 v6, v6                                       // 0000000065A0: 7E0C4106
	v_exp_f32_e32 v7, v7                                       // 0000000065A4: 7E0E4107
	v_add_f32_e64 v4, v4, 1.0                                  // 0000000065A8: D1010004 0001E504
	v_add_f32_e64 v5, v5, 1.0                                  // 0000000065B0: D1010005 0001E505
	v_add_f32_e64 v6, v6, 1.0                                  // 0000000065B8: D1010006 0001E506
	v_add_f32_e64 v7, v7, 1.0                                  // 0000000065C0: D1010007 0001E507
	v_rcp_f32_e32 v4, v4                                       // 0000000065C8: 7E084504
	v_rcp_f32_e32 v5, v5                                       // 0000000065CC: 7E0A4505
	v_rcp_f32_e32 v6, v6                                       // 0000000065D0: 7E0C4506
	v_rcp_f32_e32 v7, v7                                       // 0000000065D4: 7E0E4507
	v_mul_f32_e32 v92, v92, v4                                 // 0000000065D8: 0AB8095C
	v_mul_f32_e32 v93, v93, v5                                 // 0000000065DC: 0ABA0B5D
	v_mul_f32_e32 v94, v94, v6                                 // 0000000065E0: 0ABC0D5E
	v_mul_f32_e32 v95, v95, v7                                 // 0000000065E4: 0ABE0F5F
	v_mul_f32_e32 v92, v92, v156                               // 0000000065E8: 0AB9395C
	v_mul_f32_e32 v93, v93, v157                               // 0000000065EC: 0ABB3B5D
	v_mul_f32_e32 v94, v94, v158                               // 0000000065F0: 0ABD3D5E
	v_mul_f32_e32 v95, v95, v159                               // 0000000065F4: 0ABF3F5F
	v_pk_mul_f32 v[4:5], v[96:97], v[96:97]                    // 0000000065F8: D3B14004 1802C160
	v_pk_mul_f32 v[6:7], v[98:99], v[98:99]                    // 000000006600: D3B14006 1802C562
	v_pk_fma_f32 v[4:5], v[4:5], s[78:79], v[8:9]              // 000000006608: D3B04004 1C209D04
	v_pk_fma_f32 v[6:7], v[6:7], s[78:79], v[8:9]              // 000000006610: D3B04006 1C209D06
	v_pk_mul_f32 v[4:5], v[4:5], v[96:97]                      // 000000006618: D3B14004 1802C104
	v_pk_mul_f32 v[6:7], v[6:7], v[98:99]                      // 000000006620: D3B14006 1802C506
	v_pk_mul_f32 v[4:5], v[4:5], s[60:61]                      // 000000006628: D3B14004 18007904
	v_pk_mul_f32 v[6:7], v[6:7], s[60:61]                      // 000000006630: D3B14006 18007906
	v_exp_f32_e32 v4, v4                                       // 000000006638: 7E084104
	v_exp_f32_e32 v5, v5                                       // 00000000663C: 7E0A4105
	v_exp_f32_e32 v6, v6                                       // 000000006640: 7E0C4106
	v_exp_f32_e32 v7, v7                                       // 000000006644: 7E0E4107
	v_add_f32_e64 v4, v4, 1.0                                  // 000000006648: D1010004 0001E504
	v_add_f32_e64 v5, v5, 1.0                                  // 000000006650: D1010005 0001E505
	v_add_f32_e64 v6, v6, 1.0                                  // 000000006658: D1010006 0001E506
	v_add_f32_e64 v7, v7, 1.0                                  // 000000006660: D1010007 0001E507
	v_rcp_f32_e32 v4, v4                                       // 000000006668: 7E084504
	v_rcp_f32_e32 v5, v5                                       // 00000000666C: 7E0A4505
	v_rcp_f32_e32 v6, v6                                       // 000000006670: 7E0C4506
	v_rcp_f32_e32 v7, v7                                       // 000000006674: 7E0E4507
	v_mul_f32_e32 v96, v96, v4                                 // 000000006678: 0AC00960
	v_mul_f32_e32 v97, v97, v5                                 // 00000000667C: 0AC20B61
	v_mul_f32_e32 v98, v98, v6                                 // 000000006680: 0AC40D62
	v_mul_f32_e32 v99, v99, v7                                 // 000000006684: 0AC60F63
	v_mul_f32_e32 v96, v96, v160                               // 000000006688: 0AC14160
	v_mul_f32_e32 v97, v97, v161                               // 00000000668C: 0AC34361
	v_mul_f32_e32 v98, v98, v162                               // 000000006690: 0AC54562
	v_mul_f32_e32 v99, v99, v163                               // 000000006694: 0AC74763
	v_pk_mul_f32 v[4:5], v[100:101], v[100:101]                // 000000006698: D3B14004 1802C964
	v_pk_mul_f32 v[6:7], v[102:103], v[102:103]                // 0000000066A0: D3B14006 1802CD66
	v_pk_fma_f32 v[4:5], v[4:5], s[78:79], v[8:9]              // 0000000066A8: D3B04004 1C209D04
	v_pk_fma_f32 v[6:7], v[6:7], s[78:79], v[8:9]              // 0000000066B0: D3B04006 1C209D06
	v_pk_mul_f32 v[4:5], v[4:5], v[100:101]                    // 0000000066B8: D3B14004 1802C904
	v_pk_mul_f32 v[6:7], v[6:7], v[102:103]                    // 0000000066C0: D3B14006 1802CD06
	v_pk_mul_f32 v[4:5], v[4:5], s[60:61]                      // 0000000066C8: D3B14004 18007904
	v_pk_mul_f32 v[6:7], v[6:7], s[60:61]                      // 0000000066D0: D3B14006 18007906
	v_exp_f32_e32 v4, v4                                       // 0000000066D8: 7E084104
	v_exp_f32_e32 v5, v5                                       // 0000000066DC: 7E0A4105
	v_exp_f32_e32 v6, v6                                       // 0000000066E0: 7E0C4106
	v_exp_f32_e32 v7, v7                                       // 0000000066E4: 7E0E4107
	v_add_f32_e64 v4, v4, 1.0                                  // 0000000066E8: D1010004 0001E504
	v_add_f32_e64 v5, v5, 1.0                                  // 0000000066F0: D1010005 0001E505
	v_add_f32_e64 v6, v6, 1.0                                  // 0000000066F8: D1010006 0001E506
	v_add_f32_e64 v7, v7, 1.0                                  // 000000006700: D1010007 0001E507
	v_rcp_f32_e32 v4, v4                                       // 000000006708: 7E084504
	v_rcp_f32_e32 v5, v5                                       // 00000000670C: 7E0A4505
	v_rcp_f32_e32 v6, v6                                       // 000000006710: 7E0C4506
	v_rcp_f32_e32 v7, v7                                       // 000000006714: 7E0E4507
	v_mul_f32_e32 v100, v100, v4                               // 000000006718: 0AC80964
	v_mul_f32_e32 v101, v101, v5                               // 00000000671C: 0ACA0B65
	v_mul_f32_e32 v102, v102, v6                               // 000000006720: 0ACC0D66
	v_mul_f32_e32 v103, v103, v7                               // 000000006724: 0ACE0F67
	v_mul_f32_e32 v100, v100, v164                             // 000000006728: 0AC94964
	v_mul_f32_e32 v101, v101, v165                             // 00000000672C: 0ACB4B65
	v_mul_f32_e32 v102, v102, v166                             // 000000006730: 0ACD4D66
	v_mul_f32_e32 v103, v103, v167                             // 000000006734: 0ACF4F67
	v_pk_mul_f32 v[4:5], v[104:105], v[104:105]                // 000000006738: D3B14004 1802D168
	v_pk_mul_f32 v[6:7], v[106:107], v[106:107]                // 000000006740: D3B14006 1802D56A
	v_pk_fma_f32 v[4:5], v[4:5], s[78:79], v[8:9]              // 000000006748: D3B04004 1C209D04
	v_pk_fma_f32 v[6:7], v[6:7], s[78:79], v[8:9]              // 000000006750: D3B04006 1C209D06
	v_pk_mul_f32 v[4:5], v[4:5], v[104:105]                    // 000000006758: D3B14004 1802D104
	v_pk_mul_f32 v[6:7], v[6:7], v[106:107]                    // 000000006760: D3B14006 1802D506
	v_pk_mul_f32 v[4:5], v[4:5], s[60:61]                      // 000000006768: D3B14004 18007904
	v_pk_mul_f32 v[6:7], v[6:7], s[60:61]                      // 000000006770: D3B14006 18007906
	v_exp_f32_e32 v4, v4                                       // 000000006778: 7E084104
	v_exp_f32_e32 v5, v5                                       // 00000000677C: 7E0A4105
	v_exp_f32_e32 v6, v6                                       // 000000006780: 7E0C4106
	v_exp_f32_e32 v7, v7                                       // 000000006784: 7E0E4107
	v_add_f32_e64 v4, v4, 1.0                                  // 000000006788: D1010004 0001E504
	v_add_f32_e64 v5, v5, 1.0                                  // 000000006790: D1010005 0001E505
	v_add_f32_e64 v6, v6, 1.0                                  // 000000006798: D1010006 0001E506
	v_add_f32_e64 v7, v7, 1.0                                  // 0000000067A0: D1010007 0001E507
	v_rcp_f32_e32 v4, v4                                       // 0000000067A8: 7E084504
	v_rcp_f32_e32 v5, v5                                       // 0000000067AC: 7E0A4505
	v_rcp_f32_e32 v6, v6                                       // 0000000067B0: 7E0C4506
	v_rcp_f32_e32 v7, v7                                       // 0000000067B4: 7E0E4507
	v_mul_f32_e32 v104, v104, v4                               // 0000000067B8: 0AD00968
	v_mul_f32_e32 v105, v105, v5                               // 0000000067BC: 0AD20B69
	v_mul_f32_e32 v106, v106, v6                               // 0000000067C0: 0AD40D6A
	v_mul_f32_e32 v107, v107, v7                               // 0000000067C4: 0AD60F6B
	v_mul_f32_e32 v104, v104, v168                             // 0000000067C8: 0AD15168
	v_mul_f32_e32 v105, v105, v169                             // 0000000067CC: 0AD35369
	v_mul_f32_e32 v106, v106, v170                             // 0000000067D0: 0AD5556A
	v_mul_f32_e32 v107, v107, v171                             // 0000000067D4: 0AD7576B
	v_pk_mul_f32 v[4:5], v[108:109], v[108:109]                // 0000000067D8: D3B14004 1802D96C
	v_pk_mul_f32 v[6:7], v[110:111], v[110:111]                // 0000000067E0: D3B14006 1802DD6E
	v_pk_fma_f32 v[4:5], v[4:5], s[78:79], v[8:9]              // 0000000067E8: D3B04004 1C209D04
	v_pk_fma_f32 v[6:7], v[6:7], s[78:79], v[8:9]              // 0000000067F0: D3B04006 1C209D06
	v_pk_mul_f32 v[4:5], v[4:5], v[108:109]                    // 0000000067F8: D3B14004 1802D904
	v_pk_mul_f32 v[6:7], v[6:7], v[110:111]                    // 000000006800: D3B14006 1802DD06
	v_pk_mul_f32 v[4:5], v[4:5], s[60:61]                      // 000000006808: D3B14004 18007904
	v_pk_mul_f32 v[6:7], v[6:7], s[60:61]                      // 000000006810: D3B14006 18007906
	v_exp_f32_e32 v4, v4                                       // 000000006818: 7E084104
	v_exp_f32_e32 v5, v5                                       // 00000000681C: 7E0A4105
	v_exp_f32_e32 v6, v6                                       // 000000006820: 7E0C4106
	v_exp_f32_e32 v7, v7                                       // 000000006824: 7E0E4107
	v_add_f32_e64 v4, v4, 1.0                                  // 000000006828: D1010004 0001E504
	v_add_f32_e64 v5, v5, 1.0                                  // 000000006830: D1010005 0001E505
	v_add_f32_e64 v6, v6, 1.0                                  // 000000006838: D1010006 0001E506
	v_add_f32_e64 v7, v7, 1.0                                  // 000000006840: D1010007 0001E507
	v_rcp_f32_e32 v4, v4                                       // 000000006848: 7E084504
	v_rcp_f32_e32 v5, v5                                       // 00000000684C: 7E0A4505
	v_rcp_f32_e32 v6, v6                                       // 000000006850: 7E0C4506
	v_rcp_f32_e32 v7, v7                                       // 000000006854: 7E0E4507
	v_mul_f32_e32 v108, v108, v4                               // 000000006858: 0AD8096C
	v_mul_f32_e32 v109, v109, v5                               // 00000000685C: 0ADA0B6D
	v_mul_f32_e32 v110, v110, v6                               // 000000006860: 0ADC0D6E
	v_mul_f32_e32 v111, v111, v7                               // 000000006864: 0ADE0F6F
	v_mul_f32_e32 v108, v108, v172                             // 000000006868: 0AD9596C
	v_mul_f32_e32 v109, v109, v173                             // 00000000686C: 0ADB5B6D
	v_mul_f32_e32 v110, v110, v174                             // 000000006870: 0ADD5D6E
	v_mul_f32_e32 v111, v111, v175                             // 000000006874: 0ADF5F6F
	v_pk_mul_f32 v[4:5], v[112:113], v[112:113]                // 000000006878: D3B14004 1802E170
	v_pk_mul_f32 v[6:7], v[114:115], v[114:115]                // 000000006880: D3B14006 1802E572
	v_pk_fma_f32 v[4:5], v[4:5], s[78:79], v[8:9]              // 000000006888: D3B04004 1C209D04
	v_pk_fma_f32 v[6:7], v[6:7], s[78:79], v[8:9]              // 000000006890: D3B04006 1C209D06
	v_pk_mul_f32 v[4:5], v[4:5], v[112:113]                    // 000000006898: D3B14004 1802E104
	v_pk_mul_f32 v[6:7], v[6:7], v[114:115]                    // 0000000068A0: D3B14006 1802E506
	v_pk_mul_f32 v[4:5], v[4:5], s[60:61]                      // 0000000068A8: D3B14004 18007904
	v_pk_mul_f32 v[6:7], v[6:7], s[60:61]                      // 0000000068B0: D3B14006 18007906
	v_exp_f32_e32 v4, v4                                       // 0000000068B8: 7E084104
	v_exp_f32_e32 v5, v5                                       // 0000000068BC: 7E0A4105
	v_exp_f32_e32 v6, v6                                       // 0000000068C0: 7E0C4106
	v_exp_f32_e32 v7, v7                                       // 0000000068C4: 7E0E4107
	v_add_f32_e64 v4, v4, 1.0                                  // 0000000068C8: D1010004 0001E504
	v_add_f32_e64 v5, v5, 1.0                                  // 0000000068D0: D1010005 0001E505
	v_add_f32_e64 v6, v6, 1.0                                  // 0000000068D8: D1010006 0001E506
	v_add_f32_e64 v7, v7, 1.0                                  // 0000000068E0: D1010007 0001E507
	v_rcp_f32_e32 v4, v4                                       // 0000000068E8: 7E084504
	v_rcp_f32_e32 v5, v5                                       // 0000000068EC: 7E0A4505
	v_rcp_f32_e32 v6, v6                                       // 0000000068F0: 7E0C4506
	v_rcp_f32_e32 v7, v7                                       // 0000000068F4: 7E0E4507
	v_mul_f32_e32 v112, v112, v4                               // 0000000068F8: 0AE00970
	v_mul_f32_e32 v113, v113, v5                               // 0000000068FC: 0AE20B71
	v_mul_f32_e32 v114, v114, v6                               // 000000006900: 0AE40D72
	v_mul_f32_e32 v115, v115, v7                               // 000000006904: 0AE60F73
	v_mul_f32_e32 v112, v112, v176                             // 000000006908: 0AE16170
	v_mul_f32_e32 v113, v113, v177                             // 00000000690C: 0AE36371
	v_mul_f32_e32 v114, v114, v178                             // 000000006910: 0AE56572
	v_mul_f32_e32 v115, v115, v179                             // 000000006914: 0AE76773
	v_pk_mul_f32 v[4:5], v[116:117], v[116:117]                // 000000006918: D3B14004 1802E974
	v_pk_mul_f32 v[6:7], v[118:119], v[118:119]                // 000000006920: D3B14006 1802ED76
	v_pk_fma_f32 v[4:5], v[4:5], s[78:79], v[8:9]              // 000000006928: D3B04004 1C209D04
	v_pk_fma_f32 v[6:7], v[6:7], s[78:79], v[8:9]              // 000000006930: D3B04006 1C209D06
	v_pk_mul_f32 v[4:5], v[4:5], v[116:117]                    // 000000006938: D3B14004 1802E904
	v_pk_mul_f32 v[6:7], v[6:7], v[118:119]                    // 000000006940: D3B14006 1802ED06
	v_pk_mul_f32 v[4:5], v[4:5], s[60:61]                      // 000000006948: D3B14004 18007904
	v_pk_mul_f32 v[6:7], v[6:7], s[60:61]                      // 000000006950: D3B14006 18007906
	v_exp_f32_e32 v4, v4                                       // 000000006958: 7E084104
	v_exp_f32_e32 v5, v5                                       // 00000000695C: 7E0A4105
	v_exp_f32_e32 v6, v6                                       // 000000006960: 7E0C4106
	v_exp_f32_e32 v7, v7                                       // 000000006964: 7E0E4107
	v_add_f32_e64 v4, v4, 1.0                                  // 000000006968: D1010004 0001E504
	v_add_f32_e64 v5, v5, 1.0                                  // 000000006970: D1010005 0001E505
	v_add_f32_e64 v6, v6, 1.0                                  // 000000006978: D1010006 0001E506
	v_add_f32_e64 v7, v7, 1.0                                  // 000000006980: D1010007 0001E507
	v_rcp_f32_e32 v4, v4                                       // 000000006988: 7E084504
	v_rcp_f32_e32 v5, v5                                       // 00000000698C: 7E0A4505
	v_rcp_f32_e32 v6, v6                                       // 000000006990: 7E0C4506
	v_rcp_f32_e32 v7, v7                                       // 000000006994: 7E0E4507
	v_mul_f32_e32 v116, v116, v4                               // 000000006998: 0AE80974
	v_mul_f32_e32 v117, v117, v5                               // 00000000699C: 0AEA0B75
	v_mul_f32_e32 v118, v118, v6                               // 0000000069A0: 0AEC0D76
	v_mul_f32_e32 v119, v119, v7                               // 0000000069A4: 0AEE0F77
	v_mul_f32_e32 v116, v116, v180                             // 0000000069A8: 0AE96974
	v_mul_f32_e32 v117, v117, v181                             // 0000000069AC: 0AEB6B75
	v_mul_f32_e32 v118, v118, v182                             // 0000000069B0: 0AED6D76
	v_mul_f32_e32 v119, v119, v183                             // 0000000069B4: 0AEF6F77
	v_pk_mul_f32 v[4:5], v[120:121], v[120:121]                // 0000000069B8: D3B14004 1802F178
	v_pk_mul_f32 v[6:7], v[122:123], v[122:123]                // 0000000069C0: D3B14006 1802F57A
	v_pk_fma_f32 v[4:5], v[4:5], s[78:79], v[8:9]              // 0000000069C8: D3B04004 1C209D04
	v_pk_fma_f32 v[6:7], v[6:7], s[78:79], v[8:9]              // 0000000069D0: D3B04006 1C209D06
	v_pk_mul_f32 v[4:5], v[4:5], v[120:121]                    // 0000000069D8: D3B14004 1802F104
	v_pk_mul_f32 v[6:7], v[6:7], v[122:123]                    // 0000000069E0: D3B14006 1802F506
	v_pk_mul_f32 v[4:5], v[4:5], s[60:61]                      // 0000000069E8: D3B14004 18007904
	v_pk_mul_f32 v[6:7], v[6:7], s[60:61]                      // 0000000069F0: D3B14006 18007906
	v_exp_f32_e32 v4, v4                                       // 0000000069F8: 7E084104
	v_exp_f32_e32 v5, v5                                       // 0000000069FC: 7E0A4105
	v_exp_f32_e32 v6, v6                                       // 000000006A00: 7E0C4106
	v_exp_f32_e32 v7, v7                                       // 000000006A04: 7E0E4107
	v_add_f32_e64 v4, v4, 1.0                                  // 000000006A08: D1010004 0001E504
	v_add_f32_e64 v5, v5, 1.0                                  // 000000006A10: D1010005 0001E505
	v_add_f32_e64 v6, v6, 1.0                                  // 000000006A18: D1010006 0001E506
	v_add_f32_e64 v7, v7, 1.0                                  // 000000006A20: D1010007 0001E507
	v_rcp_f32_e32 v4, v4                                       // 000000006A28: 7E084504
	v_rcp_f32_e32 v5, v5                                       // 000000006A2C: 7E0A4505
	v_rcp_f32_e32 v6, v6                                       // 000000006A30: 7E0C4506
	v_rcp_f32_e32 v7, v7                                       // 000000006A34: 7E0E4507
	v_mul_f32_e32 v120, v120, v4                               // 000000006A38: 0AF00978
	v_mul_f32_e32 v121, v121, v5                               // 000000006A3C: 0AF20B79
	v_mul_f32_e32 v122, v122, v6                               // 000000006A40: 0AF40D7A
	v_mul_f32_e32 v123, v123, v7                               // 000000006A44: 0AF60F7B
	v_mul_f32_e32 v120, v120, v184                             // 000000006A48: 0AF17178
	v_mul_f32_e32 v121, v121, v185                             // 000000006A4C: 0AF37379
	v_mul_f32_e32 v122, v122, v186                             // 000000006A50: 0AF5757A
	v_mul_f32_e32 v123, v123, v187                             // 000000006A54: 0AF7777B
	v_pk_mul_f32 v[4:5], v[124:125], v[124:125]                // 000000006A58: D3B14004 1802F97C
	v_pk_mul_f32 v[6:7], v[126:127], v[126:127]                // 000000006A60: D3B14006 1802FD7E
	v_pk_fma_f32 v[4:5], v[4:5], s[78:79], v[8:9]              // 000000006A68: D3B04004 1C209D04
	v_pk_fma_f32 v[6:7], v[6:7], s[78:79], v[8:9]              // 000000006A70: D3B04006 1C209D06
	v_pk_mul_f32 v[4:5], v[4:5], v[124:125]                    // 000000006A78: D3B14004 1802F904
	v_pk_mul_f32 v[6:7], v[6:7], v[126:127]                    // 000000006A80: D3B14006 1802FD06
	v_pk_mul_f32 v[4:5], v[4:5], s[60:61]                      // 000000006A88: D3B14004 18007904
	v_pk_mul_f32 v[6:7], v[6:7], s[60:61]                      // 000000006A90: D3B14006 18007906
	v_exp_f32_e32 v4, v4                                       // 000000006A98: 7E084104
	v_exp_f32_e32 v5, v5                                       // 000000006A9C: 7E0A4105
	v_exp_f32_e32 v6, v6                                       // 000000006AA0: 7E0C4106
	v_exp_f32_e32 v7, v7                                       // 000000006AA4: 7E0E4107
	v_add_f32_e64 v4, v4, 1.0                                  // 000000006AA8: D1010004 0001E504
	v_add_f32_e64 v5, v5, 1.0                                  // 000000006AB0: D1010005 0001E505
	v_add_f32_e64 v6, v6, 1.0                                  // 000000006AB8: D1010006 0001E506
	v_add_f32_e64 v7, v7, 1.0                                  // 000000006AC0: D1010007 0001E507
	v_rcp_f32_e32 v4, v4                                       // 000000006AC8: 7E084504
	v_rcp_f32_e32 v5, v5                                       // 000000006ACC: 7E0A4505
	v_rcp_f32_e32 v6, v6                                       // 000000006AD0: 7E0C4506
	v_rcp_f32_e32 v7, v7                                       // 000000006AD4: 7E0E4507
	v_mul_f32_e32 v124, v124, v4                               // 000000006AD8: 0AF8097C
	v_mul_f32_e32 v125, v125, v5                               // 000000006ADC: 0AFA0B7D
	v_mul_f32_e32 v126, v126, v6                               // 000000006AE0: 0AFC0D7E
	v_mul_f32_e32 v127, v127, v7                               // 000000006AE4: 0AFE0F7F
	v_mul_f32_e32 v124, v124, v188                             // 000000006AE8: 0AF9797C
	v_mul_f32_e32 v125, v125, v189                             // 000000006AEC: 0AFB7B7D
	v_mul_f32_e32 v126, v126, v190                             // 000000006AF0: 0AFD7D7E
	v_mul_f32_e32 v127, v127, v191                             // 000000006AF4: 0AFF7F7F
	v_pk_mul_f32 v[4:5], v[128:129], v[128:129]                // 000000006AF8: D3B14004 18030180
	v_pk_mul_f32 v[6:7], v[130:131], v[130:131]                // 000000006B00: D3B14006 18030582
	v_pk_fma_f32 v[4:5], v[4:5], s[78:79], v[8:9]              // 000000006B08: D3B04004 1C209D04
	v_pk_fma_f32 v[6:7], v[6:7], s[78:79], v[8:9]              // 000000006B10: D3B04006 1C209D06
	v_pk_mul_f32 v[4:5], v[4:5], v[128:129]                    // 000000006B18: D3B14004 18030104
	v_pk_mul_f32 v[6:7], v[6:7], v[130:131]                    // 000000006B20: D3B14006 18030506
	v_pk_mul_f32 v[4:5], v[4:5], s[60:61]                      // 000000006B28: D3B14004 18007904
	v_pk_mul_f32 v[6:7], v[6:7], s[60:61]                      // 000000006B30: D3B14006 18007906
	v_exp_f32_e32 v4, v4                                       // 000000006B38: 7E084104
	v_exp_f32_e32 v5, v5                                       // 000000006B3C: 7E0A4105
	v_exp_f32_e32 v6, v6                                       // 000000006B40: 7E0C4106
	v_exp_f32_e32 v7, v7                                       // 000000006B44: 7E0E4107
	v_add_f32_e64 v4, v4, 1.0                                  // 000000006B48: D1010004 0001E504
	v_add_f32_e64 v5, v5, 1.0                                  // 000000006B50: D1010005 0001E505
	v_add_f32_e64 v6, v6, 1.0                                  // 000000006B58: D1010006 0001E506
	v_add_f32_e64 v7, v7, 1.0                                  // 000000006B60: D1010007 0001E507
	v_rcp_f32_e32 v4, v4                                       // 000000006B68: 7E084504
	v_rcp_f32_e32 v5, v5                                       // 000000006B6C: 7E0A4505
	v_rcp_f32_e32 v6, v6                                       // 000000006B70: 7E0C4506
	v_rcp_f32_e32 v7, v7                                       // 000000006B74: 7E0E4507
	v_mul_f32_e32 v128, v128, v4                               // 000000006B78: 0B000980
	v_mul_f32_e32 v129, v129, v5                               // 000000006B7C: 0B020B81
	v_mul_f32_e32 v130, v130, v6                               // 000000006B80: 0B040D82
	v_mul_f32_e32 v131, v131, v7                               // 000000006B84: 0B060F83
	v_mul_f32_e32 v128, v128, v192                             // 000000006B88: 0B018180
	v_mul_f32_e32 v129, v129, v193                             // 000000006B8C: 0B038381
	v_mul_f32_e32 v130, v130, v194                             // 000000006B90: 0B058582
	v_mul_f32_e32 v131, v131, v195                             // 000000006B94: 0B078783
	v_pk_mul_f32 v[4:5], v[132:133], v[132:133]                // 000000006B98: D3B14004 18030984
	v_pk_mul_f32 v[6:7], v[134:135], v[134:135]                // 000000006BA0: D3B14006 18030D86
	v_pk_fma_f32 v[4:5], v[4:5], s[78:79], v[8:9]              // 000000006BA8: D3B04004 1C209D04
	v_pk_fma_f32 v[6:7], v[6:7], s[78:79], v[8:9]              // 000000006BB0: D3B04006 1C209D06
	v_pk_mul_f32 v[4:5], v[4:5], v[132:133]                    // 000000006BB8: D3B14004 18030904
	v_pk_mul_f32 v[6:7], v[6:7], v[134:135]                    // 000000006BC0: D3B14006 18030D06
	v_pk_mul_f32 v[4:5], v[4:5], s[60:61]                      // 000000006BC8: D3B14004 18007904
	v_pk_mul_f32 v[6:7], v[6:7], s[60:61]                      // 000000006BD0: D3B14006 18007906
	v_exp_f32_e32 v4, v4                                       // 000000006BD8: 7E084104
	v_exp_f32_e32 v5, v5                                       // 000000006BDC: 7E0A4105
	v_exp_f32_e32 v6, v6                                       // 000000006BE0: 7E0C4106
	v_exp_f32_e32 v7, v7                                       // 000000006BE4: 7E0E4107
	v_add_f32_e64 v4, v4, 1.0                                  // 000000006BE8: D1010004 0001E504
	v_add_f32_e64 v5, v5, 1.0                                  // 000000006BF0: D1010005 0001E505
	v_add_f32_e64 v6, v6, 1.0                                  // 000000006BF8: D1010006 0001E506
	v_add_f32_e64 v7, v7, 1.0                                  // 000000006C00: D1010007 0001E507
	v_rcp_f32_e32 v4, v4                                       // 000000006C08: 7E084504
	v_rcp_f32_e32 v5, v5                                       // 000000006C0C: 7E0A4505
	v_rcp_f32_e32 v6, v6                                       // 000000006C10: 7E0C4506
	v_rcp_f32_e32 v7, v7                                       // 000000006C14: 7E0E4507
	v_mul_f32_e32 v132, v132, v4                               // 000000006C18: 0B080984
	v_mul_f32_e32 v133, v133, v5                               // 000000006C1C: 0B0A0B85
	v_mul_f32_e32 v134, v134, v6                               // 000000006C20: 0B0C0D86
	v_mul_f32_e32 v135, v135, v7                               // 000000006C24: 0B0E0F87
	v_mul_f32_e32 v132, v132, v196                             // 000000006C28: 0B098984
	v_mul_f32_e32 v133, v133, v197                             // 000000006C2C: 0B0B8B85
	v_mul_f32_e32 v134, v134, v198                             // 000000006C30: 0B0D8D86
	v_mul_f32_e32 v135, v135, v199                             // 000000006C34: 0B0F8F87
	v_pk_mul_f32 v[4:5], v[136:137], v[136:137]                // 000000006C38: D3B14004 18031188
	v_pk_mul_f32 v[6:7], v[138:139], v[138:139]                // 000000006C40: D3B14006 1803158A
	v_pk_fma_f32 v[4:5], v[4:5], s[78:79], v[8:9]              // 000000006C48: D3B04004 1C209D04
	v_pk_fma_f32 v[6:7], v[6:7], s[78:79], v[8:9]              // 000000006C50: D3B04006 1C209D06
	v_pk_mul_f32 v[4:5], v[4:5], v[136:137]                    // 000000006C58: D3B14004 18031104
	v_pk_mul_f32 v[6:7], v[6:7], v[138:139]                    // 000000006C60: D3B14006 18031506
	v_pk_mul_f32 v[4:5], v[4:5], s[60:61]                      // 000000006C68: D3B14004 18007904
	v_pk_mul_f32 v[6:7], v[6:7], s[60:61]                      // 000000006C70: D3B14006 18007906
	v_exp_f32_e32 v4, v4                                       // 000000006C78: 7E084104
	v_exp_f32_e32 v5, v5                                       // 000000006C7C: 7E0A4105
	v_exp_f32_e32 v6, v6                                       // 000000006C80: 7E0C4106
	v_exp_f32_e32 v7, v7                                       // 000000006C84: 7E0E4107
	v_add_f32_e64 v4, v4, 1.0                                  // 000000006C88: D1010004 0001E504
	v_add_f32_e64 v5, v5, 1.0                                  // 000000006C90: D1010005 0001E505
	v_add_f32_e64 v6, v6, 1.0                                  // 000000006C98: D1010006 0001E506
	v_add_f32_e64 v7, v7, 1.0                                  // 000000006CA0: D1010007 0001E507
	v_rcp_f32_e32 v4, v4                                       // 000000006CA8: 7E084504
	v_rcp_f32_e32 v5, v5                                       // 000000006CAC: 7E0A4505
	v_rcp_f32_e32 v6, v6                                       // 000000006CB0: 7E0C4506
	v_rcp_f32_e32 v7, v7                                       // 000000006CB4: 7E0E4507
	v_mul_f32_e32 v136, v136, v4                               // 000000006CB8: 0B100988
	v_mul_f32_e32 v137, v137, v5                               // 000000006CBC: 0B120B89
	v_mul_f32_e32 v138, v138, v6                               // 000000006CC0: 0B140D8A
	v_mul_f32_e32 v139, v139, v7                               // 000000006CC4: 0B160F8B
	v_mul_f32_e32 v136, v136, v200                             // 000000006CC8: 0B119188
	v_mul_f32_e32 v137, v137, v201                             // 000000006CCC: 0B139389
	v_mul_f32_e32 v138, v138, v202                             // 000000006CD0: 0B15958A
	v_mul_f32_e32 v139, v139, v203                             // 000000006CD4: 0B17978B
	v_pk_mul_f32 v[4:5], v[140:141], v[140:141]                // 000000006CD8: D3B14004 1803198C
	v_pk_mul_f32 v[6:7], v[142:143], v[142:143]                // 000000006CE0: D3B14006 18031D8E
	v_pk_fma_f32 v[4:5], v[4:5], s[78:79], v[8:9]              // 000000006CE8: D3B04004 1C209D04
	v_pk_fma_f32 v[6:7], v[6:7], s[78:79], v[8:9]              // 000000006CF0: D3B04006 1C209D06
	v_pk_mul_f32 v[4:5], v[4:5], v[140:141]                    // 000000006CF8: D3B14004 18031904
	v_pk_mul_f32 v[6:7], v[6:7], v[142:143]                    // 000000006D00: D3B14006 18031D06
	v_pk_mul_f32 v[4:5], v[4:5], s[60:61]                      // 000000006D08: D3B14004 18007904
	v_pk_mul_f32 v[6:7], v[6:7], s[60:61]                      // 000000006D10: D3B14006 18007906
	v_exp_f32_e32 v4, v4                                       // 000000006D18: 7E084104
	v_exp_f32_e32 v5, v5                                       // 000000006D1C: 7E0A4105
	v_exp_f32_e32 v6, v6                                       // 000000006D20: 7E0C4106
	v_exp_f32_e32 v7, v7                                       // 000000006D24: 7E0E4107
	v_add_f32_e64 v4, v4, 1.0                                  // 000000006D28: D1010004 0001E504
	v_add_f32_e64 v5, v5, 1.0                                  // 000000006D30: D1010005 0001E505
	v_add_f32_e64 v6, v6, 1.0                                  // 000000006D38: D1010006 0001E506
	v_add_f32_e64 v7, v7, 1.0                                  // 000000006D40: D1010007 0001E507
	v_rcp_f32_e32 v4, v4                                       // 000000006D48: 7E084504
	v_rcp_f32_e32 v5, v5                                       // 000000006D4C: 7E0A4505
	v_rcp_f32_e32 v6, v6                                       // 000000006D50: 7E0C4506
	v_rcp_f32_e32 v7, v7                                       // 000000006D54: 7E0E4507
	v_mul_f32_e32 v140, v140, v4                               // 000000006D58: 0B18098C
	v_mul_f32_e32 v141, v141, v5                               // 000000006D5C: 0B1A0B8D
	v_mul_f32_e32 v142, v142, v6                               // 000000006D60: 0B1C0D8E
	v_mul_f32_e32 v143, v143, v7                               // 000000006D64: 0B1E0F8F
	v_mul_f32_e32 v140, v140, v204                             // 000000006D68: 0B19998C
	v_mul_f32_e32 v141, v141, v205                             // 000000006D6C: 0B1B9B8D
	v_mul_f32_e32 v142, v142, v206                             // 000000006D70: 0B1D9D8E
	v_mul_f32_e32 v143, v143, v207                             // 000000006D74: 0B1F9F8F
	s_branch label_12DF                                        // 000000006D78: BF820200

0000000000006d7c <label_10DF>:
	v_mul_f32_e64 v4, -v80, s6                                 // 000000006D7C: D1050004 20000D50
	v_mul_f32_e64 v5, -v81, s6                                 // 000000006D84: D1050005 20000D51
	v_mul_f32_e64 v6, -v82, s6                                 // 000000006D8C: D1050006 20000D52
	v_mul_f32_e64 v7, -v83, s6                                 // 000000006D94: D1050007 20000D53
	v_exp_f32_e32 v4, v4                                       // 000000006D9C: 7E084104
	v_exp_f32_e32 v5, v5                                       // 000000006DA0: 7E0A4105
	v_exp_f32_e32 v6, v6                                       // 000000006DA4: 7E0C4106
	v_exp_f32_e32 v7, v7                                       // 000000006DA8: 7E0E4107
	v_add_f32_e64 v4, v4, 1.0                                  // 000000006DAC: D1010004 0001E504
	v_add_f32_e64 v5, v5, 1.0                                  // 000000006DB4: D1010005 0001E505
	v_add_f32_e64 v6, v6, 1.0                                  // 000000006DBC: D1010006 0001E506
	v_add_f32_e64 v7, v7, 1.0                                  // 000000006DC4: D1010007 0001E507
	v_rcp_f32_e32 v4, v4                                       // 000000006DCC: 7E084504
	v_rcp_f32_e32 v5, v5                                       // 000000006DD0: 7E0A4505
	v_rcp_f32_e32 v6, v6                                       // 000000006DD4: 7E0C4506
	v_rcp_f32_e32 v7, v7                                       // 000000006DD8: 7E0E4507
	v_mul_f32_e32 v80, v80, v4                                 // 000000006DDC: 0AA00950
	v_mul_f32_e32 v81, v81, v5                                 // 000000006DE0: 0AA20B51
	v_mul_f32_e32 v82, v82, v6                                 // 000000006DE4: 0AA40D52
	v_mul_f32_e32 v83, v83, v7                                 // 000000006DE8: 0AA60F53
	v_mul_f32_e32 v80, v80, v144                               // 000000006DEC: 0AA12150
	v_mul_f32_e32 v81, v81, v145                               // 000000006DF0: 0AA32351
	v_mul_f32_e32 v82, v82, v146                               // 000000006DF4: 0AA52552
	v_mul_f32_e32 v83, v83, v147                               // 000000006DF8: 0AA72753
	v_mul_f32_e64 v4, -v84, s6                                 // 000000006DFC: D1050004 20000D54
	v_mul_f32_e64 v5, -v85, s6                                 // 000000006E04: D1050005 20000D55
	v_mul_f32_e64 v6, -v86, s6                                 // 000000006E0C: D1050006 20000D56
	v_mul_f32_e64 v7, -v87, s6                                 // 000000006E14: D1050007 20000D57
	v_exp_f32_e32 v4, v4                                       // 000000006E1C: 7E084104
	v_exp_f32_e32 v5, v5                                       // 000000006E20: 7E0A4105
	v_exp_f32_e32 v6, v6                                       // 000000006E24: 7E0C4106
	v_exp_f32_e32 v7, v7                                       // 000000006E28: 7E0E4107
	v_add_f32_e64 v4, v4, 1.0                                  // 000000006E2C: D1010004 0001E504
	v_add_f32_e64 v5, v5, 1.0                                  // 000000006E34: D1010005 0001E505
	v_add_f32_e64 v6, v6, 1.0                                  // 000000006E3C: D1010006 0001E506
	v_add_f32_e64 v7, v7, 1.0                                  // 000000006E44: D1010007 0001E507
	v_rcp_f32_e32 v4, v4                                       // 000000006E4C: 7E084504
	v_rcp_f32_e32 v5, v5                                       // 000000006E50: 7E0A4505
	v_rcp_f32_e32 v6, v6                                       // 000000006E54: 7E0C4506
	v_rcp_f32_e32 v7, v7                                       // 000000006E58: 7E0E4507
	v_mul_f32_e32 v84, v84, v4                                 // 000000006E5C: 0AA80954
	v_mul_f32_e32 v85, v85, v5                                 // 000000006E60: 0AAA0B55
	v_mul_f32_e32 v86, v86, v6                                 // 000000006E64: 0AAC0D56
	v_mul_f32_e32 v87, v87, v7                                 // 000000006E68: 0AAE0F57
	v_mul_f32_e32 v84, v84, v148                               // 000000006E6C: 0AA92954
	v_mul_f32_e32 v85, v85, v149                               // 000000006E70: 0AAB2B55
	v_mul_f32_e32 v86, v86, v150                               // 000000006E74: 0AAD2D56
	v_mul_f32_e32 v87, v87, v151                               // 000000006E78: 0AAF2F57
	v_mul_f32_e64 v4, -v88, s6                                 // 000000006E7C: D1050004 20000D58
	v_mul_f32_e64 v5, -v89, s6                                 // 000000006E84: D1050005 20000D59
	v_mul_f32_e64 v6, -v90, s6                                 // 000000006E8C: D1050006 20000D5A
	v_mul_f32_e64 v7, -v91, s6                                 // 000000006E94: D1050007 20000D5B
	v_exp_f32_e32 v4, v4                                       // 000000006E9C: 7E084104
	v_exp_f32_e32 v5, v5                                       // 000000006EA0: 7E0A4105
	v_exp_f32_e32 v6, v6                                       // 000000006EA4: 7E0C4106
	v_exp_f32_e32 v7, v7                                       // 000000006EA8: 7E0E4107
	v_add_f32_e64 v4, v4, 1.0                                  // 000000006EAC: D1010004 0001E504
	v_add_f32_e64 v5, v5, 1.0                                  // 000000006EB4: D1010005 0001E505
	v_add_f32_e64 v6, v6, 1.0                                  // 000000006EBC: D1010006 0001E506
	v_add_f32_e64 v7, v7, 1.0                                  // 000000006EC4: D1010007 0001E507
	v_rcp_f32_e32 v4, v4                                       // 000000006ECC: 7E084504
	v_rcp_f32_e32 v5, v5                                       // 000000006ED0: 7E0A4505
	v_rcp_f32_e32 v6, v6                                       // 000000006ED4: 7E0C4506
	v_rcp_f32_e32 v7, v7                                       // 000000006ED8: 7E0E4507
	v_mul_f32_e32 v88, v88, v4                                 // 000000006EDC: 0AB00958
	v_mul_f32_e32 v89, v89, v5                                 // 000000006EE0: 0AB20B59
	v_mul_f32_e32 v90, v90, v6                                 // 000000006EE4: 0AB40D5A
	v_mul_f32_e32 v91, v91, v7                                 // 000000006EE8: 0AB60F5B
	v_mul_f32_e32 v88, v88, v152                               // 000000006EEC: 0AB13158
	v_mul_f32_e32 v89, v89, v153                               // 000000006EF0: 0AB33359
	v_mul_f32_e32 v90, v90, v154                               // 000000006EF4: 0AB5355A
	v_mul_f32_e32 v91, v91, v155                               // 000000006EF8: 0AB7375B
	v_mul_f32_e64 v4, -v92, s6                                 // 000000006EFC: D1050004 20000D5C
	v_mul_f32_e64 v5, -v93, s6                                 // 000000006F04: D1050005 20000D5D
	v_mul_f32_e64 v6, -v94, s6                                 // 000000006F0C: D1050006 20000D5E
	v_mul_f32_e64 v7, -v95, s6                                 // 000000006F14: D1050007 20000D5F
	v_exp_f32_e32 v4, v4                                       // 000000006F1C: 7E084104
	v_exp_f32_e32 v5, v5                                       // 000000006F20: 7E0A4105
	v_exp_f32_e32 v6, v6                                       // 000000006F24: 7E0C4106
	v_exp_f32_e32 v7, v7                                       // 000000006F28: 7E0E4107
	v_add_f32_e64 v4, v4, 1.0                                  // 000000006F2C: D1010004 0001E504
	v_add_f32_e64 v5, v5, 1.0                                  // 000000006F34: D1010005 0001E505
	v_add_f32_e64 v6, v6, 1.0                                  // 000000006F3C: D1010006 0001E506
	v_add_f32_e64 v7, v7, 1.0                                  // 000000006F44: D1010007 0001E507
	v_rcp_f32_e32 v4, v4                                       // 000000006F4C: 7E084504
	v_rcp_f32_e32 v5, v5                                       // 000000006F50: 7E0A4505
	v_rcp_f32_e32 v6, v6                                       // 000000006F54: 7E0C4506
	v_rcp_f32_e32 v7, v7                                       // 000000006F58: 7E0E4507
	v_mul_f32_e32 v92, v92, v4                                 // 000000006F5C: 0AB8095C
	v_mul_f32_e32 v93, v93, v5                                 // 000000006F60: 0ABA0B5D
	v_mul_f32_e32 v94, v94, v6                                 // 000000006F64: 0ABC0D5E
	v_mul_f32_e32 v95, v95, v7                                 // 000000006F68: 0ABE0F5F
	v_mul_f32_e32 v92, v92, v156                               // 000000006F6C: 0AB9395C
	v_mul_f32_e32 v93, v93, v157                               // 000000006F70: 0ABB3B5D
	v_mul_f32_e32 v94, v94, v158                               // 000000006F74: 0ABD3D5E
	v_mul_f32_e32 v95, v95, v159                               // 000000006F78: 0ABF3F5F
	v_mul_f32_e64 v4, -v96, s6                                 // 000000006F7C: D1050004 20000D60
	v_mul_f32_e64 v5, -v97, s6                                 // 000000006F84: D1050005 20000D61
	v_mul_f32_e64 v6, -v98, s6                                 // 000000006F8C: D1050006 20000D62
	v_mul_f32_e64 v7, -v99, s6                                 // 000000006F94: D1050007 20000D63
	v_exp_f32_e32 v4, v4                                       // 000000006F9C: 7E084104
	v_exp_f32_e32 v5, v5                                       // 000000006FA0: 7E0A4105
	v_exp_f32_e32 v6, v6                                       // 000000006FA4: 7E0C4106
	v_exp_f32_e32 v7, v7                                       // 000000006FA8: 7E0E4107
	v_add_f32_e64 v4, v4, 1.0                                  // 000000006FAC: D1010004 0001E504
	v_add_f32_e64 v5, v5, 1.0                                  // 000000006FB4: D1010005 0001E505
	v_add_f32_e64 v6, v6, 1.0                                  // 000000006FBC: D1010006 0001E506
	v_add_f32_e64 v7, v7, 1.0                                  // 000000006FC4: D1010007 0001E507
	v_rcp_f32_e32 v4, v4                                       // 000000006FCC: 7E084504
	v_rcp_f32_e32 v5, v5                                       // 000000006FD0: 7E0A4505
	v_rcp_f32_e32 v6, v6                                       // 000000006FD4: 7E0C4506
	v_rcp_f32_e32 v7, v7                                       // 000000006FD8: 7E0E4507
	v_mul_f32_e32 v96, v96, v4                                 // 000000006FDC: 0AC00960
	v_mul_f32_e32 v97, v97, v5                                 // 000000006FE0: 0AC20B61
	v_mul_f32_e32 v98, v98, v6                                 // 000000006FE4: 0AC40D62
	v_mul_f32_e32 v99, v99, v7                                 // 000000006FE8: 0AC60F63
	v_mul_f32_e32 v96, v96, v160                               // 000000006FEC: 0AC14160
	v_mul_f32_e32 v97, v97, v161                               // 000000006FF0: 0AC34361
	v_mul_f32_e32 v98, v98, v162                               // 000000006FF4: 0AC54562
	v_mul_f32_e32 v99, v99, v163                               // 000000006FF8: 0AC74763
	v_mul_f32_e64 v4, -v100, s6                                // 000000006FFC: D1050004 20000D64
	v_mul_f32_e64 v5, -v101, s6                                // 000000007004: D1050005 20000D65
	v_mul_f32_e64 v6, -v102, s6                                // 00000000700C: D1050006 20000D66
	v_mul_f32_e64 v7, -v103, s6                                // 000000007014: D1050007 20000D67
	v_exp_f32_e32 v4, v4                                       // 00000000701C: 7E084104
	v_exp_f32_e32 v5, v5                                       // 000000007020: 7E0A4105
	v_exp_f32_e32 v6, v6                                       // 000000007024: 7E0C4106
	v_exp_f32_e32 v7, v7                                       // 000000007028: 7E0E4107
	v_add_f32_e64 v4, v4, 1.0                                  // 00000000702C: D1010004 0001E504
	v_add_f32_e64 v5, v5, 1.0                                  // 000000007034: D1010005 0001E505
	v_add_f32_e64 v6, v6, 1.0                                  // 00000000703C: D1010006 0001E506
	v_add_f32_e64 v7, v7, 1.0                                  // 000000007044: D1010007 0001E507
	v_rcp_f32_e32 v4, v4                                       // 00000000704C: 7E084504
	v_rcp_f32_e32 v5, v5                                       // 000000007050: 7E0A4505
	v_rcp_f32_e32 v6, v6                                       // 000000007054: 7E0C4506
	v_rcp_f32_e32 v7, v7                                       // 000000007058: 7E0E4507
	v_mul_f32_e32 v100, v100, v4                               // 00000000705C: 0AC80964
	v_mul_f32_e32 v101, v101, v5                               // 000000007060: 0ACA0B65
	v_mul_f32_e32 v102, v102, v6                               // 000000007064: 0ACC0D66
	v_mul_f32_e32 v103, v103, v7                               // 000000007068: 0ACE0F67
	v_mul_f32_e32 v100, v100, v164                             // 00000000706C: 0AC94964
	v_mul_f32_e32 v101, v101, v165                             // 000000007070: 0ACB4B65
	v_mul_f32_e32 v102, v102, v166                             // 000000007074: 0ACD4D66
	v_mul_f32_e32 v103, v103, v167                             // 000000007078: 0ACF4F67
	v_mul_f32_e64 v4, -v104, s6                                // 00000000707C: D1050004 20000D68
	v_mul_f32_e64 v5, -v105, s6                                // 000000007084: D1050005 20000D69
	v_mul_f32_e64 v6, -v106, s6                                // 00000000708C: D1050006 20000D6A
	v_mul_f32_e64 v7, -v107, s6                                // 000000007094: D1050007 20000D6B
	v_exp_f32_e32 v4, v4                                       // 00000000709C: 7E084104
	v_exp_f32_e32 v5, v5                                       // 0000000070A0: 7E0A4105
	v_exp_f32_e32 v6, v6                                       // 0000000070A4: 7E0C4106
	v_exp_f32_e32 v7, v7                                       // 0000000070A8: 7E0E4107
	v_add_f32_e64 v4, v4, 1.0                                  // 0000000070AC: D1010004 0001E504
	v_add_f32_e64 v5, v5, 1.0                                  // 0000000070B4: D1010005 0001E505
	v_add_f32_e64 v6, v6, 1.0                                  // 0000000070BC: D1010006 0001E506
	v_add_f32_e64 v7, v7, 1.0                                  // 0000000070C4: D1010007 0001E507
	v_rcp_f32_e32 v4, v4                                       // 0000000070CC: 7E084504
	v_rcp_f32_e32 v5, v5                                       // 0000000070D0: 7E0A4505
	v_rcp_f32_e32 v6, v6                                       // 0000000070D4: 7E0C4506
	v_rcp_f32_e32 v7, v7                                       // 0000000070D8: 7E0E4507
	v_mul_f32_e32 v104, v104, v4                               // 0000000070DC: 0AD00968
	v_mul_f32_e32 v105, v105, v5                               // 0000000070E0: 0AD20B69
	v_mul_f32_e32 v106, v106, v6                               // 0000000070E4: 0AD40D6A
	v_mul_f32_e32 v107, v107, v7                               // 0000000070E8: 0AD60F6B
	v_mul_f32_e32 v104, v104, v168                             // 0000000070EC: 0AD15168
	v_mul_f32_e32 v105, v105, v169                             // 0000000070F0: 0AD35369
	v_mul_f32_e32 v106, v106, v170                             // 0000000070F4: 0AD5556A
	v_mul_f32_e32 v107, v107, v171                             // 0000000070F8: 0AD7576B
	v_mul_f32_e64 v4, -v108, s6                                // 0000000070FC: D1050004 20000D6C
	v_mul_f32_e64 v5, -v109, s6                                // 000000007104: D1050005 20000D6D
	v_mul_f32_e64 v6, -v110, s6                                // 00000000710C: D1050006 20000D6E
	v_mul_f32_e64 v7, -v111, s6                                // 000000007114: D1050007 20000D6F
	v_exp_f32_e32 v4, v4                                       // 00000000711C: 7E084104
	v_exp_f32_e32 v5, v5                                       // 000000007120: 7E0A4105
	v_exp_f32_e32 v6, v6                                       // 000000007124: 7E0C4106
	v_exp_f32_e32 v7, v7                                       // 000000007128: 7E0E4107
	v_add_f32_e64 v4, v4, 1.0                                  // 00000000712C: D1010004 0001E504
	v_add_f32_e64 v5, v5, 1.0                                  // 000000007134: D1010005 0001E505
	v_add_f32_e64 v6, v6, 1.0                                  // 00000000713C: D1010006 0001E506
	v_add_f32_e64 v7, v7, 1.0                                  // 000000007144: D1010007 0001E507
	v_rcp_f32_e32 v4, v4                                       // 00000000714C: 7E084504
	v_rcp_f32_e32 v5, v5                                       // 000000007150: 7E0A4505
	v_rcp_f32_e32 v6, v6                                       // 000000007154: 7E0C4506
	v_rcp_f32_e32 v7, v7                                       // 000000007158: 7E0E4507
	v_mul_f32_e32 v108, v108, v4                               // 00000000715C: 0AD8096C
	v_mul_f32_e32 v109, v109, v5                               // 000000007160: 0ADA0B6D
	v_mul_f32_e32 v110, v110, v6                               // 000000007164: 0ADC0D6E
	v_mul_f32_e32 v111, v111, v7                               // 000000007168: 0ADE0F6F
	v_mul_f32_e32 v108, v108, v172                             // 00000000716C: 0AD9596C
	v_mul_f32_e32 v109, v109, v173                             // 000000007170: 0ADB5B6D
	v_mul_f32_e32 v110, v110, v174                             // 000000007174: 0ADD5D6E
	v_mul_f32_e32 v111, v111, v175                             // 000000007178: 0ADF5F6F
	v_mul_f32_e64 v4, -v112, s6                                // 00000000717C: D1050004 20000D70
	v_mul_f32_e64 v5, -v113, s6                                // 000000007184: D1050005 20000D71
	v_mul_f32_e64 v6, -v114, s6                                // 00000000718C: D1050006 20000D72
	v_mul_f32_e64 v7, -v115, s6                                // 000000007194: D1050007 20000D73
	v_exp_f32_e32 v4, v4                                       // 00000000719C: 7E084104
	v_exp_f32_e32 v5, v5                                       // 0000000071A0: 7E0A4105
	v_exp_f32_e32 v6, v6                                       // 0000000071A4: 7E0C4106
	v_exp_f32_e32 v7, v7                                       // 0000000071A8: 7E0E4107
	v_add_f32_e64 v4, v4, 1.0                                  // 0000000071AC: D1010004 0001E504
	v_add_f32_e64 v5, v5, 1.0                                  // 0000000071B4: D1010005 0001E505
	v_add_f32_e64 v6, v6, 1.0                                  // 0000000071BC: D1010006 0001E506
	v_add_f32_e64 v7, v7, 1.0                                  // 0000000071C4: D1010007 0001E507
	v_rcp_f32_e32 v4, v4                                       // 0000000071CC: 7E084504
	v_rcp_f32_e32 v5, v5                                       // 0000000071D0: 7E0A4505
	v_rcp_f32_e32 v6, v6                                       // 0000000071D4: 7E0C4506
	v_rcp_f32_e32 v7, v7                                       // 0000000071D8: 7E0E4507
	v_mul_f32_e32 v112, v112, v4                               // 0000000071DC: 0AE00970
	v_mul_f32_e32 v113, v113, v5                               // 0000000071E0: 0AE20B71
	v_mul_f32_e32 v114, v114, v6                               // 0000000071E4: 0AE40D72
	v_mul_f32_e32 v115, v115, v7                               // 0000000071E8: 0AE60F73
	v_mul_f32_e32 v112, v112, v176                             // 0000000071EC: 0AE16170
	v_mul_f32_e32 v113, v113, v177                             // 0000000071F0: 0AE36371
	v_mul_f32_e32 v114, v114, v178                             // 0000000071F4: 0AE56572
	v_mul_f32_e32 v115, v115, v179                             // 0000000071F8: 0AE76773
	v_mul_f32_e64 v4, -v116, s6                                // 0000000071FC: D1050004 20000D74
	v_mul_f32_e64 v5, -v117, s6                                // 000000007204: D1050005 20000D75
	v_mul_f32_e64 v6, -v118, s6                                // 00000000720C: D1050006 20000D76
	v_mul_f32_e64 v7, -v119, s6                                // 000000007214: D1050007 20000D77
	v_exp_f32_e32 v4, v4                                       // 00000000721C: 7E084104
	v_exp_f32_e32 v5, v5                                       // 000000007220: 7E0A4105
	v_exp_f32_e32 v6, v6                                       // 000000007224: 7E0C4106
	v_exp_f32_e32 v7, v7                                       // 000000007228: 7E0E4107
	v_add_f32_e64 v4, v4, 1.0                                  // 00000000722C: D1010004 0001E504
	v_add_f32_e64 v5, v5, 1.0                                  // 000000007234: D1010005 0001E505
	v_add_f32_e64 v6, v6, 1.0                                  // 00000000723C: D1010006 0001E506
	v_add_f32_e64 v7, v7, 1.0                                  // 000000007244: D1010007 0001E507
	v_rcp_f32_e32 v4, v4                                       // 00000000724C: 7E084504
	v_rcp_f32_e32 v5, v5                                       // 000000007250: 7E0A4505
	v_rcp_f32_e32 v6, v6                                       // 000000007254: 7E0C4506
	v_rcp_f32_e32 v7, v7                                       // 000000007258: 7E0E4507
	v_mul_f32_e32 v116, v116, v4                               // 00000000725C: 0AE80974
	v_mul_f32_e32 v117, v117, v5                               // 000000007260: 0AEA0B75
	v_mul_f32_e32 v118, v118, v6                               // 000000007264: 0AEC0D76
	v_mul_f32_e32 v119, v119, v7                               // 000000007268: 0AEE0F77
	v_mul_f32_e32 v116, v116, v180                             // 00000000726C: 0AE96974
	v_mul_f32_e32 v117, v117, v181                             // 000000007270: 0AEB6B75
	v_mul_f32_e32 v118, v118, v182                             // 000000007274: 0AED6D76
	v_mul_f32_e32 v119, v119, v183                             // 000000007278: 0AEF6F77
	v_mul_f32_e64 v4, -v120, s6                                // 00000000727C: D1050004 20000D78
	v_mul_f32_e64 v5, -v121, s6                                // 000000007284: D1050005 20000D79
	v_mul_f32_e64 v6, -v122, s6                                // 00000000728C: D1050006 20000D7A
	v_mul_f32_e64 v7, -v123, s6                                // 000000007294: D1050007 20000D7B
	v_exp_f32_e32 v4, v4                                       // 00000000729C: 7E084104
	v_exp_f32_e32 v5, v5                                       // 0000000072A0: 7E0A4105
	v_exp_f32_e32 v6, v6                                       // 0000000072A4: 7E0C4106
	v_exp_f32_e32 v7, v7                                       // 0000000072A8: 7E0E4107
	v_add_f32_e64 v4, v4, 1.0                                  // 0000000072AC: D1010004 0001E504
	v_add_f32_e64 v5, v5, 1.0                                  // 0000000072B4: D1010005 0001E505
	v_add_f32_e64 v6, v6, 1.0                                  // 0000000072BC: D1010006 0001E506
	v_add_f32_e64 v7, v7, 1.0                                  // 0000000072C4: D1010007 0001E507
	v_rcp_f32_e32 v4, v4                                       // 0000000072CC: 7E084504
	v_rcp_f32_e32 v5, v5                                       // 0000000072D0: 7E0A4505
	v_rcp_f32_e32 v6, v6                                       // 0000000072D4: 7E0C4506
	v_rcp_f32_e32 v7, v7                                       // 0000000072D8: 7E0E4507
	v_mul_f32_e32 v120, v120, v4                               // 0000000072DC: 0AF00978
	v_mul_f32_e32 v121, v121, v5                               // 0000000072E0: 0AF20B79
	v_mul_f32_e32 v122, v122, v6                               // 0000000072E4: 0AF40D7A
	v_mul_f32_e32 v123, v123, v7                               // 0000000072E8: 0AF60F7B
	v_mul_f32_e32 v120, v120, v184                             // 0000000072EC: 0AF17178
	v_mul_f32_e32 v121, v121, v185                             // 0000000072F0: 0AF37379
	v_mul_f32_e32 v122, v122, v186                             // 0000000072F4: 0AF5757A
	v_mul_f32_e32 v123, v123, v187                             // 0000000072F8: 0AF7777B
	v_mul_f32_e64 v4, -v124, s6                                // 0000000072FC: D1050004 20000D7C
	v_mul_f32_e64 v5, -v125, s6                                // 000000007304: D1050005 20000D7D
	v_mul_f32_e64 v6, -v126, s6                                // 00000000730C: D1050006 20000D7E
	v_mul_f32_e64 v7, -v127, s6                                // 000000007314: D1050007 20000D7F
	v_exp_f32_e32 v4, v4                                       // 00000000731C: 7E084104
	v_exp_f32_e32 v5, v5                                       // 000000007320: 7E0A4105
	v_exp_f32_e32 v6, v6                                       // 000000007324: 7E0C4106
	v_exp_f32_e32 v7, v7                                       // 000000007328: 7E0E4107
	v_add_f32_e64 v4, v4, 1.0                                  // 00000000732C: D1010004 0001E504
	v_add_f32_e64 v5, v5, 1.0                                  // 000000007334: D1010005 0001E505
	v_add_f32_e64 v6, v6, 1.0                                  // 00000000733C: D1010006 0001E506
	v_add_f32_e64 v7, v7, 1.0                                  // 000000007344: D1010007 0001E507
	v_rcp_f32_e32 v4, v4                                       // 00000000734C: 7E084504
	v_rcp_f32_e32 v5, v5                                       // 000000007350: 7E0A4505
	v_rcp_f32_e32 v6, v6                                       // 000000007354: 7E0C4506
	v_rcp_f32_e32 v7, v7                                       // 000000007358: 7E0E4507
	v_mul_f32_e32 v124, v124, v4                               // 00000000735C: 0AF8097C
	v_mul_f32_e32 v125, v125, v5                               // 000000007360: 0AFA0B7D
	v_mul_f32_e32 v126, v126, v6                               // 000000007364: 0AFC0D7E
	v_mul_f32_e32 v127, v127, v7                               // 000000007368: 0AFE0F7F
	v_mul_f32_e32 v124, v124, v188                             // 00000000736C: 0AF9797C
	v_mul_f32_e32 v125, v125, v189                             // 000000007370: 0AFB7B7D
	v_mul_f32_e32 v126, v126, v190                             // 000000007374: 0AFD7D7E
	v_mul_f32_e32 v127, v127, v191                             // 000000007378: 0AFF7F7F
	v_mul_f32_e64 v4, -v128, s6                                // 00000000737C: D1050004 20000D80
	v_mul_f32_e64 v5, -v129, s6                                // 000000007384: D1050005 20000D81
	v_mul_f32_e64 v6, -v130, s6                                // 00000000738C: D1050006 20000D82
	v_mul_f32_e64 v7, -v131, s6                                // 000000007394: D1050007 20000D83
	v_exp_f32_e32 v4, v4                                       // 00000000739C: 7E084104
	v_exp_f32_e32 v5, v5                                       // 0000000073A0: 7E0A4105
	v_exp_f32_e32 v6, v6                                       // 0000000073A4: 7E0C4106
	v_exp_f32_e32 v7, v7                                       // 0000000073A8: 7E0E4107
	v_add_f32_e64 v4, v4, 1.0                                  // 0000000073AC: D1010004 0001E504
	v_add_f32_e64 v5, v5, 1.0                                  // 0000000073B4: D1010005 0001E505
	v_add_f32_e64 v6, v6, 1.0                                  // 0000000073BC: D1010006 0001E506
	v_add_f32_e64 v7, v7, 1.0                                  // 0000000073C4: D1010007 0001E507
	v_rcp_f32_e32 v4, v4                                       // 0000000073CC: 7E084504
	v_rcp_f32_e32 v5, v5                                       // 0000000073D0: 7E0A4505
	v_rcp_f32_e32 v6, v6                                       // 0000000073D4: 7E0C4506
	v_rcp_f32_e32 v7, v7                                       // 0000000073D8: 7E0E4507
	v_mul_f32_e32 v128, v128, v4                               // 0000000073DC: 0B000980
	v_mul_f32_e32 v129, v129, v5                               // 0000000073E0: 0B020B81
	v_mul_f32_e32 v130, v130, v6                               // 0000000073E4: 0B040D82
	v_mul_f32_e32 v131, v131, v7                               // 0000000073E8: 0B060F83
	v_mul_f32_e32 v128, v128, v192                             // 0000000073EC: 0B018180
	v_mul_f32_e32 v129, v129, v193                             // 0000000073F0: 0B038381
	v_mul_f32_e32 v130, v130, v194                             // 0000000073F4: 0B058582
	v_mul_f32_e32 v131, v131, v195                             // 0000000073F8: 0B078783
	v_mul_f32_e64 v4, -v132, s6                                // 0000000073FC: D1050004 20000D84
	v_mul_f32_e64 v5, -v133, s6                                // 000000007404: D1050005 20000D85
	v_mul_f32_e64 v6, -v134, s6                                // 00000000740C: D1050006 20000D86
	v_mul_f32_e64 v7, -v135, s6                                // 000000007414: D1050007 20000D87
	v_exp_f32_e32 v4, v4                                       // 00000000741C: 7E084104
	v_exp_f32_e32 v5, v5                                       // 000000007420: 7E0A4105
	v_exp_f32_e32 v6, v6                                       // 000000007424: 7E0C4106
	v_exp_f32_e32 v7, v7                                       // 000000007428: 7E0E4107
	v_add_f32_e64 v4, v4, 1.0                                  // 00000000742C: D1010004 0001E504
	v_add_f32_e64 v5, v5, 1.0                                  // 000000007434: D1010005 0001E505
	v_add_f32_e64 v6, v6, 1.0                                  // 00000000743C: D1010006 0001E506
	v_add_f32_e64 v7, v7, 1.0                                  // 000000007444: D1010007 0001E507
	v_rcp_f32_e32 v4, v4                                       // 00000000744C: 7E084504
	v_rcp_f32_e32 v5, v5                                       // 000000007450: 7E0A4505
	v_rcp_f32_e32 v6, v6                                       // 000000007454: 7E0C4506
	v_rcp_f32_e32 v7, v7                                       // 000000007458: 7E0E4507
	v_mul_f32_e32 v132, v132, v4                               // 00000000745C: 0B080984
	v_mul_f32_e32 v133, v133, v5                               // 000000007460: 0B0A0B85
	v_mul_f32_e32 v134, v134, v6                               // 000000007464: 0B0C0D86
	v_mul_f32_e32 v135, v135, v7                               // 000000007468: 0B0E0F87
	v_mul_f32_e32 v132, v132, v196                             // 00000000746C: 0B098984
	v_mul_f32_e32 v133, v133, v197                             // 000000007470: 0B0B8B85
	v_mul_f32_e32 v134, v134, v198                             // 000000007474: 0B0D8D86
	v_mul_f32_e32 v135, v135, v199                             // 000000007478: 0B0F8F87
	v_mul_f32_e64 v4, -v136, s6                                // 00000000747C: D1050004 20000D88
	v_mul_f32_e64 v5, -v137, s6                                // 000000007484: D1050005 20000D89
	v_mul_f32_e64 v6, -v138, s6                                // 00000000748C: D1050006 20000D8A
	v_mul_f32_e64 v7, -v139, s6                                // 000000007494: D1050007 20000D8B
	v_exp_f32_e32 v4, v4                                       // 00000000749C: 7E084104
	v_exp_f32_e32 v5, v5                                       // 0000000074A0: 7E0A4105
	v_exp_f32_e32 v6, v6                                       // 0000000074A4: 7E0C4106
	v_exp_f32_e32 v7, v7                                       // 0000000074A8: 7E0E4107
	v_add_f32_e64 v4, v4, 1.0                                  // 0000000074AC: D1010004 0001E504
	v_add_f32_e64 v5, v5, 1.0                                  // 0000000074B4: D1010005 0001E505
	v_add_f32_e64 v6, v6, 1.0                                  // 0000000074BC: D1010006 0001E506
	v_add_f32_e64 v7, v7, 1.0                                  // 0000000074C4: D1010007 0001E507
	v_rcp_f32_e32 v4, v4                                       // 0000000074CC: 7E084504
	v_rcp_f32_e32 v5, v5                                       // 0000000074D0: 7E0A4505
	v_rcp_f32_e32 v6, v6                                       // 0000000074D4: 7E0C4506
	v_rcp_f32_e32 v7, v7                                       // 0000000074D8: 7E0E4507
	v_mul_f32_e32 v136, v136, v4                               // 0000000074DC: 0B100988
	v_mul_f32_e32 v137, v137, v5                               // 0000000074E0: 0B120B89
	v_mul_f32_e32 v138, v138, v6                               // 0000000074E4: 0B140D8A
	v_mul_f32_e32 v139, v139, v7                               // 0000000074E8: 0B160F8B
	v_mul_f32_e32 v136, v136, v200                             // 0000000074EC: 0B119188
	v_mul_f32_e32 v137, v137, v201                             // 0000000074F0: 0B139389
	v_mul_f32_e32 v138, v138, v202                             // 0000000074F4: 0B15958A
	v_mul_f32_e32 v139, v139, v203                             // 0000000074F8: 0B17978B
	v_mul_f32_e64 v4, -v140, s6                                // 0000000074FC: D1050004 20000D8C
	v_mul_f32_e64 v5, -v141, s6                                // 000000007504: D1050005 20000D8D
	v_mul_f32_e64 v6, -v142, s6                                // 00000000750C: D1050006 20000D8E
	v_mul_f32_e64 v7, -v143, s6                                // 000000007514: D1050007 20000D8F
	v_exp_f32_e32 v4, v4                                       // 00000000751C: 7E084104
	v_exp_f32_e32 v5, v5                                       // 000000007520: 7E0A4105
	v_exp_f32_e32 v6, v6                                       // 000000007524: 7E0C4106
	v_exp_f32_e32 v7, v7                                       // 000000007528: 7E0E4107
	v_add_f32_e64 v4, v4, 1.0                                  // 00000000752C: D1010004 0001E504
	v_add_f32_e64 v5, v5, 1.0                                  // 000000007534: D1010005 0001E505
	v_add_f32_e64 v6, v6, 1.0                                  // 00000000753C: D1010006 0001E506
	v_add_f32_e64 v7, v7, 1.0                                  // 000000007544: D1010007 0001E507
	v_rcp_f32_e32 v4, v4                                       // 00000000754C: 7E084504
	v_rcp_f32_e32 v5, v5                                       // 000000007550: 7E0A4505
	v_rcp_f32_e32 v6, v6                                       // 000000007554: 7E0C4506
	v_rcp_f32_e32 v7, v7                                       // 000000007558: 7E0E4507
	v_mul_f32_e32 v140, v140, v4                               // 00000000755C: 0B18098C
	v_mul_f32_e32 v141, v141, v5                               // 000000007560: 0B1A0B8D
	v_mul_f32_e32 v142, v142, v6                               // 000000007564: 0B1C0D8E
	v_mul_f32_e32 v143, v143, v7                               // 000000007568: 0B1E0F8F
	v_mul_f32_e32 v140, v140, v204                             // 00000000756C: 0B19998C
	v_mul_f32_e32 v141, v141, v205                             // 000000007570: 0B1B9B8D
	v_mul_f32_e32 v142, v142, v206                             // 000000007574: 0B1D9D8E
	v_mul_f32_e32 v143, v143, v207                             // 000000007578: 0B1F9F8F

000000000000757c <label_12DF>:
	v_cmp_u_f32_e64 s[46:47], v80, v80                         // 00000000757C: D048002E 0002A150
	v_add3_u32 v16, v80, v19, 1                                // 000000007584: D1FF0010 02062750
	v_cndmask_b32_e64 v4, v16, v18, s[46:47]                   // 00000000758C: D1000004 00BA2510
	v_cmp_u_f32_e64 s[46:47], v81, v81                         // 000000007594: D048002E 0002A351
	v_add3_u32 v16, v81, v19, 1                                // 00000000759C: D1FF0010 02062751
	v_cndmask_b32_e64 v5, v16, v18, s[46:47]                   // 0000000075A4: D1000005 00BA2510
	v_perm_b32 v80, v5, v4, s52                                // 0000000075AC: D1ED0050 00D20905
	v_cmp_u_f32_e64 s[46:47], v82, v82                         // 0000000075B4: D048002E 0002A552
	v_add3_u32 v16, v82, v19, 1                                // 0000000075BC: D1FF0010 02062752
	v_cndmask_b32_e64 v4, v16, v18, s[46:47]                   // 0000000075C4: D1000004 00BA2510
	v_cmp_u_f32_e64 s[46:47], v83, v83                         // 0000000075CC: D048002E 0002A753
	v_add3_u32 v16, v83, v19, 1                                // 0000000075D4: D1FF0010 02062753
	v_cndmask_b32_e64 v5, v16, v18, s[46:47]                   // 0000000075DC: D1000005 00BA2510
	v_perm_b32 v81, v5, v4, s52                                // 0000000075E4: D1ED0051 00D20905
	v_cmp_u_f32_e64 s[46:47], v84, v84                         // 0000000075EC: D048002E 0002A954
	v_add3_u32 v16, v84, v19, 1                                // 0000000075F4: D1FF0010 02062754
	v_cndmask_b32_e64 v4, v16, v18, s[46:47]                   // 0000000075FC: D1000004 00BA2510
	v_cmp_u_f32_e64 s[46:47], v85, v85                         // 000000007604: D048002E 0002AB55
	v_add3_u32 v16, v85, v19, 1                                // 00000000760C: D1FF0010 02062755
	v_cndmask_b32_e64 v5, v16, v18, s[46:47]                   // 000000007614: D1000005 00BA2510
	v_perm_b32 v82, v5, v4, s52                                // 00000000761C: D1ED0052 00D20905
	v_cmp_u_f32_e64 s[46:47], v86, v86                         // 000000007624: D048002E 0002AD56
	v_add3_u32 v16, v86, v19, 1                                // 00000000762C: D1FF0010 02062756
	v_cndmask_b32_e64 v4, v16, v18, s[46:47]                   // 000000007634: D1000004 00BA2510
	v_cmp_u_f32_e64 s[46:47], v87, v87                         // 00000000763C: D048002E 0002AF57
	v_add3_u32 v16, v87, v19, 1                                // 000000007644: D1FF0010 02062757
	v_cndmask_b32_e64 v5, v16, v18, s[46:47]                   // 00000000764C: D1000005 00BA2510
	v_perm_b32 v83, v5, v4, s52                                // 000000007654: D1ED0053 00D20905
	v_cmp_u_f32_e64 s[46:47], v88, v88                         // 00000000765C: D048002E 0002B158
	v_add3_u32 v16, v88, v19, 1                                // 000000007664: D1FF0010 02062758
	v_cndmask_b32_e64 v4, v16, v18, s[46:47]                   // 00000000766C: D1000004 00BA2510
	v_cmp_u_f32_e64 s[46:47], v89, v89                         // 000000007674: D048002E 0002B359
	v_add3_u32 v16, v89, v19, 1                                // 00000000767C: D1FF0010 02062759
	v_cndmask_b32_e64 v5, v16, v18, s[46:47]                   // 000000007684: D1000005 00BA2510
	v_perm_b32 v84, v5, v4, s52                                // 00000000768C: D1ED0054 00D20905
	v_cmp_u_f32_e64 s[46:47], v90, v90                         // 000000007694: D048002E 0002B55A
	v_add3_u32 v16, v90, v19, 1                                // 00000000769C: D1FF0010 0206275A
	v_cndmask_b32_e64 v4, v16, v18, s[46:47]                   // 0000000076A4: D1000004 00BA2510
	v_cmp_u_f32_e64 s[46:47], v91, v91                         // 0000000076AC: D048002E 0002B75B
	v_add3_u32 v16, v91, v19, 1                                // 0000000076B4: D1FF0010 0206275B
	v_cndmask_b32_e64 v5, v16, v18, s[46:47]                   // 0000000076BC: D1000005 00BA2510
	v_perm_b32 v85, v5, v4, s52                                // 0000000076C4: D1ED0055 00D20905
	v_cmp_u_f32_e64 s[46:47], v92, v92                         // 0000000076CC: D048002E 0002B95C
	v_add3_u32 v16, v92, v19, 1                                // 0000000076D4: D1FF0010 0206275C
	v_cndmask_b32_e64 v4, v16, v18, s[46:47]                   // 0000000076DC: D1000004 00BA2510
	v_cmp_u_f32_e64 s[46:47], v93, v93                         // 0000000076E4: D048002E 0002BB5D
	v_add3_u32 v16, v93, v19, 1                                // 0000000076EC: D1FF0010 0206275D
	v_cndmask_b32_e64 v5, v16, v18, s[46:47]                   // 0000000076F4: D1000005 00BA2510
	v_perm_b32 v86, v5, v4, s52                                // 0000000076FC: D1ED0056 00D20905
	v_cmp_u_f32_e64 s[46:47], v94, v94                         // 000000007704: D048002E 0002BD5E
	v_add3_u32 v16, v94, v19, 1                                // 00000000770C: D1FF0010 0206275E
	v_cndmask_b32_e64 v4, v16, v18, s[46:47]                   // 000000007714: D1000004 00BA2510
	v_cmp_u_f32_e64 s[46:47], v95, v95                         // 00000000771C: D048002E 0002BF5F
	v_add3_u32 v16, v95, v19, 1                                // 000000007724: D1FF0010 0206275F
	v_cndmask_b32_e64 v5, v16, v18, s[46:47]                   // 00000000772C: D1000005 00BA2510
	v_perm_b32 v87, v5, v4, s52                                // 000000007734: D1ED0057 00D20905
	v_cmp_u_f32_e64 s[46:47], v96, v96                         // 00000000773C: D048002E 0002C160
	v_add3_u32 v16, v96, v19, 1                                // 000000007744: D1FF0010 02062760
	v_cndmask_b32_e64 v4, v16, v18, s[46:47]                   // 00000000774C: D1000004 00BA2510
	v_cmp_u_f32_e64 s[46:47], v97, v97                         // 000000007754: D048002E 0002C361
	v_add3_u32 v16, v97, v19, 1                                // 00000000775C: D1FF0010 02062761
	v_cndmask_b32_e64 v5, v16, v18, s[46:47]                   // 000000007764: D1000005 00BA2510
	v_perm_b32 v88, v5, v4, s52                                // 00000000776C: D1ED0058 00D20905
	v_cmp_u_f32_e64 s[46:47], v98, v98                         // 000000007774: D048002E 0002C562
	v_add3_u32 v16, v98, v19, 1                                // 00000000777C: D1FF0010 02062762
	v_cndmask_b32_e64 v4, v16, v18, s[46:47]                   // 000000007784: D1000004 00BA2510
	v_cmp_u_f32_e64 s[46:47], v99, v99                         // 00000000778C: D048002E 0002C763
	v_add3_u32 v16, v99, v19, 1                                // 000000007794: D1FF0010 02062763
	v_cndmask_b32_e64 v5, v16, v18, s[46:47]                   // 00000000779C: D1000005 00BA2510
	v_perm_b32 v89, v5, v4, s52                                // 0000000077A4: D1ED0059 00D20905
	v_cmp_u_f32_e64 s[46:47], v100, v100                       // 0000000077AC: D048002E 0002C964
	v_add3_u32 v16, v100, v19, 1                               // 0000000077B4: D1FF0010 02062764
	v_cndmask_b32_e64 v4, v16, v18, s[46:47]                   // 0000000077BC: D1000004 00BA2510
	v_cmp_u_f32_e64 s[46:47], v101, v101                       // 0000000077C4: D048002E 0002CB65
	v_add3_u32 v16, v101, v19, 1                               // 0000000077CC: D1FF0010 02062765
	v_cndmask_b32_e64 v5, v16, v18, s[46:47]                   // 0000000077D4: D1000005 00BA2510
	v_perm_b32 v90, v5, v4, s52                                // 0000000077DC: D1ED005A 00D20905
	v_cmp_u_f32_e64 s[46:47], v102, v102                       // 0000000077E4: D048002E 0002CD66
	v_add3_u32 v16, v102, v19, 1                               // 0000000077EC: D1FF0010 02062766
	v_cndmask_b32_e64 v4, v16, v18, s[46:47]                   // 0000000077F4: D1000004 00BA2510
	v_cmp_u_f32_e64 s[46:47], v103, v103                       // 0000000077FC: D048002E 0002CF67
	v_add3_u32 v16, v103, v19, 1                               // 000000007804: D1FF0010 02062767
	v_cndmask_b32_e64 v5, v16, v18, s[46:47]                   // 00000000780C: D1000005 00BA2510
	v_perm_b32 v91, v5, v4, s52                                // 000000007814: D1ED005B 00D20905
	v_cmp_u_f32_e64 s[46:47], v104, v104                       // 00000000781C: D048002E 0002D168
	v_add3_u32 v16, v104, v19, 1                               // 000000007824: D1FF0010 02062768
	v_cndmask_b32_e64 v4, v16, v18, s[46:47]                   // 00000000782C: D1000004 00BA2510
	v_cmp_u_f32_e64 s[46:47], v105, v105                       // 000000007834: D048002E 0002D369
	v_add3_u32 v16, v105, v19, 1                               // 00000000783C: D1FF0010 02062769
	v_cndmask_b32_e64 v5, v16, v18, s[46:47]                   // 000000007844: D1000005 00BA2510
	v_perm_b32 v92, v5, v4, s52                                // 00000000784C: D1ED005C 00D20905
	v_cmp_u_f32_e64 s[46:47], v106, v106                       // 000000007854: D048002E 0002D56A
	v_add3_u32 v16, v106, v19, 1                               // 00000000785C: D1FF0010 0206276A
	v_cndmask_b32_e64 v4, v16, v18, s[46:47]                   // 000000007864: D1000004 00BA2510
	v_cmp_u_f32_e64 s[46:47], v107, v107                       // 00000000786C: D048002E 0002D76B
	v_add3_u32 v16, v107, v19, 1                               // 000000007874: D1FF0010 0206276B
	v_cndmask_b32_e64 v5, v16, v18, s[46:47]                   // 00000000787C: D1000005 00BA2510
	v_perm_b32 v93, v5, v4, s52                                // 000000007884: D1ED005D 00D20905
	v_cmp_u_f32_e64 s[46:47], v108, v108                       // 00000000788C: D048002E 0002D96C
	v_add3_u32 v16, v108, v19, 1                               // 000000007894: D1FF0010 0206276C
	v_cndmask_b32_e64 v4, v16, v18, s[46:47]                   // 00000000789C: D1000004 00BA2510
	v_cmp_u_f32_e64 s[46:47], v109, v109                       // 0000000078A4: D048002E 0002DB6D
	v_add3_u32 v16, v109, v19, 1                               // 0000000078AC: D1FF0010 0206276D
	v_cndmask_b32_e64 v5, v16, v18, s[46:47]                   // 0000000078B4: D1000005 00BA2510
	v_perm_b32 v94, v5, v4, s52                                // 0000000078BC: D1ED005E 00D20905
	v_cmp_u_f32_e64 s[46:47], v110, v110                       // 0000000078C4: D048002E 0002DD6E
	v_add3_u32 v16, v110, v19, 1                               // 0000000078CC: D1FF0010 0206276E
	v_cndmask_b32_e64 v4, v16, v18, s[46:47]                   // 0000000078D4: D1000004 00BA2510
	v_cmp_u_f32_e64 s[46:47], v111, v111                       // 0000000078DC: D048002E 0002DF6F
	v_add3_u32 v16, v111, v19, 1                               // 0000000078E4: D1FF0010 0206276F
	v_cndmask_b32_e64 v5, v16, v18, s[46:47]                   // 0000000078EC: D1000005 00BA2510
	v_perm_b32 v95, v5, v4, s52                                // 0000000078F4: D1ED005F 00D20905
	v_cmp_u_f32_e64 s[46:47], v112, v112                       // 0000000078FC: D048002E 0002E170
	v_add3_u32 v16, v112, v19, 1                               // 000000007904: D1FF0010 02062770
	v_cndmask_b32_e64 v4, v16, v18, s[46:47]                   // 00000000790C: D1000004 00BA2510
	v_cmp_u_f32_e64 s[46:47], v113, v113                       // 000000007914: D048002E 0002E371
	v_add3_u32 v16, v113, v19, 1                               // 00000000791C: D1FF0010 02062771
	v_cndmask_b32_e64 v5, v16, v18, s[46:47]                   // 000000007924: D1000005 00BA2510
	v_perm_b32 v96, v5, v4, s52                                // 00000000792C: D1ED0060 00D20905
	v_cmp_u_f32_e64 s[46:47], v114, v114                       // 000000007934: D048002E 0002E572
	v_add3_u32 v16, v114, v19, 1                               // 00000000793C: D1FF0010 02062772
	v_cndmask_b32_e64 v4, v16, v18, s[46:47]                   // 000000007944: D1000004 00BA2510
	v_cmp_u_f32_e64 s[46:47], v115, v115                       // 00000000794C: D048002E 0002E773
	v_add3_u32 v16, v115, v19, 1                               // 000000007954: D1FF0010 02062773
	v_cndmask_b32_e64 v5, v16, v18, s[46:47]                   // 00000000795C: D1000005 00BA2510
	v_perm_b32 v97, v5, v4, s52                                // 000000007964: D1ED0061 00D20905
	v_cmp_u_f32_e64 s[46:47], v116, v116                       // 00000000796C: D048002E 0002E974
	v_add3_u32 v16, v116, v19, 1                               // 000000007974: D1FF0010 02062774
	v_cndmask_b32_e64 v4, v16, v18, s[46:47]                   // 00000000797C: D1000004 00BA2510
	v_cmp_u_f32_e64 s[46:47], v117, v117                       // 000000007984: D048002E 0002EB75
	v_add3_u32 v16, v117, v19, 1                               // 00000000798C: D1FF0010 02062775
	v_cndmask_b32_e64 v5, v16, v18, s[46:47]                   // 000000007994: D1000005 00BA2510
	v_perm_b32 v98, v5, v4, s52                                // 00000000799C: D1ED0062 00D20905
	v_cmp_u_f32_e64 s[46:47], v118, v118                       // 0000000079A4: D048002E 0002ED76
	v_add3_u32 v16, v118, v19, 1                               // 0000000079AC: D1FF0010 02062776
	v_cndmask_b32_e64 v4, v16, v18, s[46:47]                   // 0000000079B4: D1000004 00BA2510
	v_cmp_u_f32_e64 s[46:47], v119, v119                       // 0000000079BC: D048002E 0002EF77
	v_add3_u32 v16, v119, v19, 1                               // 0000000079C4: D1FF0010 02062777
	v_cndmask_b32_e64 v5, v16, v18, s[46:47]                   // 0000000079CC: D1000005 00BA2510
	v_perm_b32 v99, v5, v4, s52                                // 0000000079D4: D1ED0063 00D20905
	v_cmp_u_f32_e64 s[46:47], v120, v120                       // 0000000079DC: D048002E 0002F178
	v_add3_u32 v16, v120, v19, 1                               // 0000000079E4: D1FF0010 02062778
	v_cndmask_b32_e64 v4, v16, v18, s[46:47]                   // 0000000079EC: D1000004 00BA2510
	v_cmp_u_f32_e64 s[46:47], v121, v121                       // 0000000079F4: D048002E 0002F379
	v_add3_u32 v16, v121, v19, 1                               // 0000000079FC: D1FF0010 02062779
	v_cndmask_b32_e64 v5, v16, v18, s[46:47]                   // 000000007A04: D1000005 00BA2510
	v_perm_b32 v100, v5, v4, s52                               // 000000007A0C: D1ED0064 00D20905
	v_cmp_u_f32_e64 s[46:47], v122, v122                       // 000000007A14: D048002E 0002F57A
	v_add3_u32 v16, v122, v19, 1                               // 000000007A1C: D1FF0010 0206277A
	v_cndmask_b32_e64 v4, v16, v18, s[46:47]                   // 000000007A24: D1000004 00BA2510
	v_cmp_u_f32_e64 s[46:47], v123, v123                       // 000000007A2C: D048002E 0002F77B
	v_add3_u32 v16, v123, v19, 1                               // 000000007A34: D1FF0010 0206277B
	v_cndmask_b32_e64 v5, v16, v18, s[46:47]                   // 000000007A3C: D1000005 00BA2510
	v_perm_b32 v101, v5, v4, s52                               // 000000007A44: D1ED0065 00D20905
	v_cmp_u_f32_e64 s[46:47], v124, v124                       // 000000007A4C: D048002E 0002F97C
	v_add3_u32 v16, v124, v19, 1                               // 000000007A54: D1FF0010 0206277C
	v_cndmask_b32_e64 v4, v16, v18, s[46:47]                   // 000000007A5C: D1000004 00BA2510
	v_cmp_u_f32_e64 s[46:47], v125, v125                       // 000000007A64: D048002E 0002FB7D
	v_add3_u32 v16, v125, v19, 1                               // 000000007A6C: D1FF0010 0206277D
	v_cndmask_b32_e64 v5, v16, v18, s[46:47]                   // 000000007A74: D1000005 00BA2510
	v_perm_b32 v102, v5, v4, s52                               // 000000007A7C: D1ED0066 00D20905
	v_cmp_u_f32_e64 s[46:47], v126, v126                       // 000000007A84: D048002E 0002FD7E
	v_add3_u32 v16, v126, v19, 1                               // 000000007A8C: D1FF0010 0206277E
	v_cndmask_b32_e64 v4, v16, v18, s[46:47]                   // 000000007A94: D1000004 00BA2510
	v_cmp_u_f32_e64 s[46:47], v127, v127                       // 000000007A9C: D048002E 0002FF7F
	v_add3_u32 v16, v127, v19, 1                               // 000000007AA4: D1FF0010 0206277F
	v_cndmask_b32_e64 v5, v16, v18, s[46:47]                   // 000000007AAC: D1000005 00BA2510
	v_perm_b32 v103, v5, v4, s52                               // 000000007AB4: D1ED0067 00D20905
	v_cmp_u_f32_e64 s[46:47], v128, v128                       // 000000007ABC: D048002E 00030180
	v_add3_u32 v16, v128, v19, 1                               // 000000007AC4: D1FF0010 02062780
	v_cndmask_b32_e64 v4, v16, v18, s[46:47]                   // 000000007ACC: D1000004 00BA2510
	v_cmp_u_f32_e64 s[46:47], v129, v129                       // 000000007AD4: D048002E 00030381
	v_add3_u32 v16, v129, v19, 1                               // 000000007ADC: D1FF0010 02062781
	v_cndmask_b32_e64 v5, v16, v18, s[46:47]                   // 000000007AE4: D1000005 00BA2510
	v_perm_b32 v104, v5, v4, s52                               // 000000007AEC: D1ED0068 00D20905
	v_cmp_u_f32_e64 s[46:47], v130, v130                       // 000000007AF4: D048002E 00030582
	v_add3_u32 v16, v130, v19, 1                               // 000000007AFC: D1FF0010 02062782
	v_cndmask_b32_e64 v4, v16, v18, s[46:47]                   // 000000007B04: D1000004 00BA2510
	v_cmp_u_f32_e64 s[46:47], v131, v131                       // 000000007B0C: D048002E 00030783
	v_add3_u32 v16, v131, v19, 1                               // 000000007B14: D1FF0010 02062783
	v_cndmask_b32_e64 v5, v16, v18, s[46:47]                   // 000000007B1C: D1000005 00BA2510
	v_perm_b32 v105, v5, v4, s52                               // 000000007B24: D1ED0069 00D20905
	v_cmp_u_f32_e64 s[46:47], v132, v132                       // 000000007B2C: D048002E 00030984
	v_add3_u32 v16, v132, v19, 1                               // 000000007B34: D1FF0010 02062784
	v_cndmask_b32_e64 v4, v16, v18, s[46:47]                   // 000000007B3C: D1000004 00BA2510
	v_cmp_u_f32_e64 s[46:47], v133, v133                       // 000000007B44: D048002E 00030B85
	v_add3_u32 v16, v133, v19, 1                               // 000000007B4C: D1FF0010 02062785
	v_cndmask_b32_e64 v5, v16, v18, s[46:47]                   // 000000007B54: D1000005 00BA2510
	v_perm_b32 v106, v5, v4, s52                               // 000000007B5C: D1ED006A 00D20905
	v_cmp_u_f32_e64 s[46:47], v134, v134                       // 000000007B64: D048002E 00030D86
	v_add3_u32 v16, v134, v19, 1                               // 000000007B6C: D1FF0010 02062786
	v_cndmask_b32_e64 v4, v16, v18, s[46:47]                   // 000000007B74: D1000004 00BA2510
	v_cmp_u_f32_e64 s[46:47], v135, v135                       // 000000007B7C: D048002E 00030F87
	v_add3_u32 v16, v135, v19, 1                               // 000000007B84: D1FF0010 02062787
	v_cndmask_b32_e64 v5, v16, v18, s[46:47]                   // 000000007B8C: D1000005 00BA2510
	v_perm_b32 v107, v5, v4, s52                               // 000000007B94: D1ED006B 00D20905
	v_cmp_u_f32_e64 s[46:47], v136, v136                       // 000000007B9C: D048002E 00031188
	v_add3_u32 v16, v136, v19, 1                               // 000000007BA4: D1FF0010 02062788
	v_cndmask_b32_e64 v4, v16, v18, s[46:47]                   // 000000007BAC: D1000004 00BA2510
	v_cmp_u_f32_e64 s[46:47], v137, v137                       // 000000007BB4: D048002E 00031389
	v_add3_u32 v16, v137, v19, 1                               // 000000007BBC: D1FF0010 02062789
	v_cndmask_b32_e64 v5, v16, v18, s[46:47]                   // 000000007BC4: D1000005 00BA2510
	v_perm_b32 v108, v5, v4, s52                               // 000000007BCC: D1ED006C 00D20905
	v_cmp_u_f32_e64 s[46:47], v138, v138                       // 000000007BD4: D048002E 0003158A
	v_add3_u32 v16, v138, v19, 1                               // 000000007BDC: D1FF0010 0206278A
	v_cndmask_b32_e64 v4, v16, v18, s[46:47]                   // 000000007BE4: D1000004 00BA2510
	v_cmp_u_f32_e64 s[46:47], v139, v139                       // 000000007BEC: D048002E 0003178B
	v_add3_u32 v16, v139, v19, 1                               // 000000007BF4: D1FF0010 0206278B
	v_cndmask_b32_e64 v5, v16, v18, s[46:47]                   // 000000007BFC: D1000005 00BA2510
	v_perm_b32 v109, v5, v4, s52                               // 000000007C04: D1ED006D 00D20905
	v_cmp_u_f32_e64 s[46:47], v140, v140                       // 000000007C0C: D048002E 0003198C
	v_add3_u32 v16, v140, v19, 1                               // 000000007C14: D1FF0010 0206278C
	v_cndmask_b32_e64 v4, v16, v18, s[46:47]                   // 000000007C1C: D1000004 00BA2510
	v_cmp_u_f32_e64 s[46:47], v141, v141                       // 000000007C24: D048002E 00031B8D
	v_add3_u32 v16, v141, v19, 1                               // 000000007C2C: D1FF0010 0206278D
	v_cndmask_b32_e64 v5, v16, v18, s[46:47]                   // 000000007C34: D1000005 00BA2510
	v_perm_b32 v110, v5, v4, s52                               // 000000007C3C: D1ED006E 00D20905
	v_cmp_u_f32_e64 s[46:47], v142, v142                       // 000000007C44: D048002E 00031D8E
	v_add3_u32 v16, v142, v19, 1                               // 000000007C4C: D1FF0010 0206278E
	v_cndmask_b32_e64 v4, v16, v18, s[46:47]                   // 000000007C54: D1000004 00BA2510
	v_cmp_u_f32_e64 s[46:47], v143, v143                       // 000000007C5C: D048002E 00031F8F
	v_add3_u32 v16, v143, v19, 1                               // 000000007C64: D1FF0010 0206278F
	v_cndmask_b32_e64 v5, v16, v18, s[46:47]                   // 000000007C6C: D1000005 00BA2510
	v_perm_b32 v111, v5, v4, s52                               // 000000007C74: D1ED006F 00D20905
	ds_write_b64 v20, v[80:81]                                 // 000000007C7C: D89A0000 00005014
	ds_write_b64 v20, v[82:83] offset:4352                     // 000000007C84: D89A1100 00005214
	ds_write_b64 v20, v[84:85] offset:8704                     // 000000007C8C: D89A2200 00005414
	ds_write_b64 v20, v[86:87] offset:13056                    // 000000007C94: D89A3300 00005614
	ds_write_b64 v20, v[88:89] offset:17408                    // 000000007C9C: D89A4400 00005814
	ds_write_b64 v20, v[90:91] offset:21760                    // 000000007CA4: D89A5500 00005A14
	ds_write_b64 v20, v[92:93] offset:26112                    // 000000007CAC: D89A6600 00005C14
	ds_write_b64 v20, v[94:95] offset:30464                    // 000000007CB4: D89A7700 00005E14
	ds_write_b64 v20, v[96:97] offset:2176                     // 000000007CBC: D89A0880 00006014
	ds_write_b64 v20, v[98:99] offset:6528                     // 000000007CC4: D89A1980 00006214
	ds_write_b64 v20, v[100:101] offset:10880                  // 000000007CCC: D89A2A80 00006414
	ds_write_b64 v20, v[102:103] offset:15232                  // 000000007CD4: D89A3B80 00006614
	ds_write_b64 v20, v[104:105] offset:19584                  // 000000007CDC: D89A4C80 00006814
	ds_write_b64 v20, v[106:107] offset:23936                  // 000000007CE4: D89A5D80 00006A14
	ds_write_b64 v20, v[108:109] offset:28288                  // 000000007CEC: D89A6E80 00006C14
	ds_write_b64 v20, v[110:111] offset:32640                  // 000000007CF4: D89A7F80 00006E14
	v_lshrrev_b32_e32 v4, 5, v0                                // 000000007CFC: 20080085
	v_xor_b32_e32 v5, 1, v4                                    // 000000007D00: 2A0A0881
	s_mul_i32 s60, s65, 2                                      // 000000007D04: 923C8241
	s_cmp_eq_u32 s88, 0                                        // 000000007D08: BF068058
	s_cselect_b32 s61, 1, 4                                    // 000000007D0C: 853D8481
	s_mul_i32 s60, s61, s60                                    // 000000007D10: 923C3C3D
	v_readlane_b32 s82, v3, 0                                  // 000000007D14: D2890052 00010103
	s_lshr_b32 s61, s82, 24                                    // 000000007D1C: 8F3D9852
	s_and_b32 s82, s82, 0xffffff                               // 000000007D20: 8652FF52 00FFFFFF
	s_mul_i32 s82, s82, s71                                    // 000000007D28: 92524752
	s_mul_i32 s61, s60, s61                                    // 000000007D2C: 923D3D3C
	s_add_u32 s82, s82, s61                                    // 000000007D30: 80523D52
	v_mul_lo_u32 v6, v5, s82                                   // 000000007D34: D2850006 0000A505
	v_readlane_b32 s82, v3, 1                                  // 000000007D3C: D2890052 00010303
	s_lshr_b32 s61, s82, 24                                    // 000000007D44: 8F3D9852
	s_and_b32 s82, s82, 0xffffff                               // 000000007D48: 8652FF52 00FFFFFF
	s_mul_i32 s82, s82, s71                                    // 000000007D50: 92524752
	s_mul_i32 s61, s60, s61                                    // 000000007D54: 923D3D3C
	s_add_u32 s82, s82, s61                                    // 000000007D58: 80523D52
	v_mul_lo_u32 v7, v4, s82                                   // 000000007D5C: D2850007 0000A504
	v_add_u32_e32 v62, v6, v7                                  // 000000007D64: 687C0F06
	v_readlane_b32 s82, v3, 2                                  // 000000007D68: D2890052 00010503
	s_lshr_b32 s61, s82, 24                                    // 000000007D70: 8F3D9852
	s_and_b32 s82, s82, 0xffffff                               // 000000007D74: 8652FF52 00FFFFFF
	s_mul_i32 s82, s82, s71                                    // 000000007D7C: 92524752
	s_mul_i32 s61, s60, s61                                    // 000000007D80: 923D3D3C
	s_add_u32 s82, s82, s61                                    // 000000007D84: 80523D52
	v_mul_lo_u32 v6, v5, s82                                   // 000000007D88: D2850006 0000A505
	v_readlane_b32 s82, v3, 3                                  // 000000007D90: D2890052 00010703
	s_lshr_b32 s61, s82, 24                                    // 000000007D98: 8F3D9852
	s_and_b32 s82, s82, 0xffffff                               // 000000007D9C: 8652FF52 00FFFFFF
	s_mul_i32 s82, s82, s71                                    // 000000007DA4: 92524752
	s_mul_i32 s61, s60, s61                                    // 000000007DA8: 923D3D3C
	s_add_u32 s82, s82, s61                                    // 000000007DAC: 80523D52
	v_mul_lo_u32 v7, v4, s82                                   // 000000007DB0: D2850007 0000A504
	v_add_u32_e32 v63, v6, v7                                  // 000000007DB8: 687E0F06
	v_readlane_b32 s82, v3, 4                                  // 000000007DBC: D2890052 00010903
	s_lshr_b32 s61, s82, 24                                    // 000000007DC4: 8F3D9852
	s_and_b32 s82, s82, 0xffffff                               // 000000007DC8: 8652FF52 00FFFFFF
	s_mul_i32 s82, s82, s71                                    // 000000007DD0: 92524752
	s_mul_i32 s61, s60, s61                                    // 000000007DD4: 923D3D3C
	s_add_u32 s82, s82, s61                                    // 000000007DD8: 80523D52
	v_mul_lo_u32 v6, v5, s82                                   // 000000007DDC: D2850006 0000A505
	v_readlane_b32 s82, v3, 5                                  // 000000007DE4: D2890052 00010B03
	s_lshr_b32 s61, s82, 24                                    // 000000007DEC: 8F3D9852
	s_and_b32 s82, s82, 0xffffff                               // 000000007DF0: 8652FF52 00FFFFFF
	s_mul_i32 s82, s82, s71                                    // 000000007DF8: 92524752
	s_mul_i32 s61, s60, s61                                    // 000000007DFC: 923D3D3C
	s_add_u32 s82, s82, s61                                    // 000000007E00: 80523D52
	v_mul_lo_u32 v7, v4, s82                                   // 000000007E04: D2850007 0000A504
	v_add_u32_e32 v64, v6, v7                                  // 000000007E0C: 68800F06
	v_readlane_b32 s82, v3, 6                                  // 000000007E10: D2890052 00010D03
	s_lshr_b32 s61, s82, 24                                    // 000000007E18: 8F3D9852
	s_and_b32 s82, s82, 0xffffff                               // 000000007E1C: 8652FF52 00FFFFFF
	s_mul_i32 s82, s82, s71                                    // 000000007E24: 92524752
	s_mul_i32 s61, s60, s61                                    // 000000007E28: 923D3D3C
	s_add_u32 s82, s82, s61                                    // 000000007E2C: 80523D52
	v_mul_lo_u32 v6, v5, s82                                   // 000000007E30: D2850006 0000A505
	v_readlane_b32 s82, v3, 7                                  // 000000007E38: D2890052 00010F03
	s_lshr_b32 s61, s82, 24                                    // 000000007E40: 8F3D9852
	s_and_b32 s82, s82, 0xffffff                               // 000000007E44: 8652FF52 00FFFFFF
	s_mul_i32 s82, s82, s71                                    // 000000007E4C: 92524752
	s_mul_i32 s61, s60, s61                                    // 000000007E50: 923D3D3C
	s_add_u32 s82, s82, s61                                    // 000000007E54: 80523D52
	v_mul_lo_u32 v7, v4, s82                                   // 000000007E58: D2850007 0000A504
	v_add_u32_e32 v65, v6, v7                                  // 000000007E60: 68820F06
	v_readlane_b32 s82, v3, 8                                  // 000000007E64: D2890052 00011103
	s_lshr_b32 s61, s82, 24                                    // 000000007E6C: 8F3D9852
	s_and_b32 s82, s82, 0xffffff                               // 000000007E70: 8652FF52 00FFFFFF
	s_mul_i32 s82, s82, s71                                    // 000000007E78: 92524752
	s_mul_i32 s61, s60, s61                                    // 000000007E7C: 923D3D3C
	s_add_u32 s82, s82, s61                                    // 000000007E80: 80523D52
	v_mul_lo_u32 v6, v5, s82                                   // 000000007E84: D2850006 0000A505
	v_readlane_b32 s82, v3, 9                                  // 000000007E8C: D2890052 00011303
	s_lshr_b32 s61, s82, 24                                    // 000000007E94: 8F3D9852
	s_and_b32 s82, s82, 0xffffff                               // 000000007E98: 8652FF52 00FFFFFF
	s_mul_i32 s82, s82, s71                                    // 000000007EA0: 92524752
	s_mul_i32 s61, s60, s61                                    // 000000007EA4: 923D3D3C
	s_add_u32 s82, s82, s61                                    // 000000007EA8: 80523D52
	v_mul_lo_u32 v7, v4, s82                                   // 000000007EAC: D2850007 0000A504
	v_add_u32_e32 v66, v6, v7                                  // 000000007EB4: 68840F06
	v_readlane_b32 s82, v3, 10                                 // 000000007EB8: D2890052 00011503
	s_lshr_b32 s61, s82, 24                                    // 000000007EC0: 8F3D9852
	s_and_b32 s82, s82, 0xffffff                               // 000000007EC4: 8652FF52 00FFFFFF
	s_mul_i32 s82, s82, s71                                    // 000000007ECC: 92524752
	s_mul_i32 s61, s60, s61                                    // 000000007ED0: 923D3D3C
	s_add_u32 s82, s82, s61                                    // 000000007ED4: 80523D52
	v_mul_lo_u32 v6, v5, s82                                   // 000000007ED8: D2850006 0000A505
	v_readlane_b32 s82, v3, 11                                 // 000000007EE0: D2890052 00011703
	s_lshr_b32 s61, s82, 24                                    // 000000007EE8: 8F3D9852
	s_and_b32 s82, s82, 0xffffff                               // 000000007EEC: 8652FF52 00FFFFFF
	s_mul_i32 s82, s82, s71                                    // 000000007EF4: 92524752
	s_mul_i32 s61, s60, s61                                    // 000000007EF8: 923D3D3C
	s_add_u32 s82, s82, s61                                    // 000000007EFC: 80523D52
	v_mul_lo_u32 v7, v4, s82                                   // 000000007F00: D2850007 0000A504
	v_add_u32_e32 v67, v6, v7                                  // 000000007F08: 68860F06
	v_readlane_b32 s82, v3, 12                                 // 000000007F0C: D2890052 00011903
	s_lshr_b32 s61, s82, 24                                    // 000000007F14: 8F3D9852
	s_and_b32 s82, s82, 0xffffff                               // 000000007F18: 8652FF52 00FFFFFF
	s_mul_i32 s82, s82, s71                                    // 000000007F20: 92524752
	s_mul_i32 s61, s60, s61                                    // 000000007F24: 923D3D3C
	s_add_u32 s82, s82, s61                                    // 000000007F28: 80523D52
	v_mul_lo_u32 v6, v5, s82                                   // 000000007F2C: D2850006 0000A505
	v_readlane_b32 s82, v3, 13                                 // 000000007F34: D2890052 00011B03
	s_lshr_b32 s61, s82, 24                                    // 000000007F3C: 8F3D9852
	s_and_b32 s82, s82, 0xffffff                               // 000000007F40: 8652FF52 00FFFFFF
	s_mul_i32 s82, s82, s71                                    // 000000007F48: 92524752
	s_mul_i32 s61, s60, s61                                    // 000000007F4C: 923D3D3C
	s_add_u32 s82, s82, s61                                    // 000000007F50: 80523D52
	v_mul_lo_u32 v7, v4, s82                                   // 000000007F54: D2850007 0000A504
	v_add_u32_e32 v68, v6, v7                                  // 000000007F5C: 68880F06
	v_readlane_b32 s82, v3, 14                                 // 000000007F60: D2890052 00011D03
	s_lshr_b32 s61, s82, 24                                    // 000000007F68: 8F3D9852
	s_and_b32 s82, s82, 0xffffff                               // 000000007F6C: 8652FF52 00FFFFFF
	s_mul_i32 s82, s82, s71                                    // 000000007F74: 92524752
	s_mul_i32 s61, s60, s61                                    // 000000007F78: 923D3D3C
	s_add_u32 s82, s82, s61                                    // 000000007F7C: 80523D52
	v_mul_lo_u32 v6, v5, s82                                   // 000000007F80: D2850006 0000A505
	v_readlane_b32 s82, v3, 15                                 // 000000007F88: D2890052 00011F03
	s_lshr_b32 s61, s82, 24                                    // 000000007F90: 8F3D9852
	s_and_b32 s82, s82, 0xffffff                               // 000000007F94: 8652FF52 00FFFFFF
	s_mul_i32 s82, s82, s71                                    // 000000007F9C: 92524752
	s_mul_i32 s61, s60, s61                                    // 000000007FA0: 923D3D3C
	s_add_u32 s82, s82, s61                                    // 000000007FA4: 80523D52
	v_mul_lo_u32 v7, v4, s82                                   // 000000007FA8: D2850007 0000A504
	v_add_u32_e32 v69, v6, v7                                  // 000000007FB0: 688A0F06
	v_readlane_b32 s82, v3, 16                                 // 000000007FB4: D2890052 00012103
	s_lshr_b32 s61, s82, 24                                    // 000000007FBC: 8F3D9852
	s_and_b32 s82, s82, 0xffffff                               // 000000007FC0: 8652FF52 00FFFFFF
	s_mul_i32 s82, s82, s71                                    // 000000007FC8: 92524752
	s_mul_i32 s61, s60, s61                                    // 000000007FCC: 923D3D3C
	s_add_u32 s82, s82, s61                                    // 000000007FD0: 80523D52
	v_mul_lo_u32 v6, v5, s82                                   // 000000007FD4: D2850006 0000A505
	v_readlane_b32 s82, v3, 17                                 // 000000007FDC: D2890052 00012303
	s_lshr_b32 s61, s82, 24                                    // 000000007FE4: 8F3D9852
	s_and_b32 s82, s82, 0xffffff                               // 000000007FE8: 8652FF52 00FFFFFF
	s_mul_i32 s82, s82, s71                                    // 000000007FF0: 92524752
	s_mul_i32 s61, s60, s61                                    // 000000007FF4: 923D3D3C
	s_add_u32 s82, s82, s61                                    // 000000007FF8: 80523D52
	v_mul_lo_u32 v7, v4, s82                                   // 000000007FFC: D2850007 0000A504
	v_add_u32_e32 v70, v6, v7                                  // 000000008004: 688C0F06
	v_readlane_b32 s82, v3, 18                                 // 000000008008: D2890052 00012503
	s_lshr_b32 s61, s82, 24                                    // 000000008010: 8F3D9852
	s_and_b32 s82, s82, 0xffffff                               // 000000008014: 8652FF52 00FFFFFF
	s_mul_i32 s82, s82, s71                                    // 00000000801C: 92524752
	s_mul_i32 s61, s60, s61                                    // 000000008020: 923D3D3C
	s_add_u32 s82, s82, s61                                    // 000000008024: 80523D52
	v_mul_lo_u32 v6, v5, s82                                   // 000000008028: D2850006 0000A505
	v_readlane_b32 s82, v3, 19                                 // 000000008030: D2890052 00012703
	s_lshr_b32 s61, s82, 24                                    // 000000008038: 8F3D9852
	s_and_b32 s82, s82, 0xffffff                               // 00000000803C: 8652FF52 00FFFFFF
	s_mul_i32 s82, s82, s71                                    // 000000008044: 92524752
	s_mul_i32 s61, s60, s61                                    // 000000008048: 923D3D3C
	s_add_u32 s82, s82, s61                                    // 00000000804C: 80523D52
	v_mul_lo_u32 v7, v4, s82                                   // 000000008050: D2850007 0000A504
	v_add_u32_e32 v71, v6, v7                                  // 000000008058: 688E0F06
	v_readlane_b32 s82, v3, 20                                 // 00000000805C: D2890052 00012903
	s_lshr_b32 s61, s82, 24                                    // 000000008064: 8F3D9852
	s_and_b32 s82, s82, 0xffffff                               // 000000008068: 8652FF52 00FFFFFF
	s_mul_i32 s82, s82, s71                                    // 000000008070: 92524752
	s_mul_i32 s61, s60, s61                                    // 000000008074: 923D3D3C
	s_add_u32 s82, s82, s61                                    // 000000008078: 80523D52
	v_mul_lo_u32 v6, v5, s82                                   // 00000000807C: D2850006 0000A505
	v_readlane_b32 s82, v3, 21                                 // 000000008084: D2890052 00012B03
	s_lshr_b32 s61, s82, 24                                    // 00000000808C: 8F3D9852
	s_and_b32 s82, s82, 0xffffff                               // 000000008090: 8652FF52 00FFFFFF
	s_mul_i32 s82, s82, s71                                    // 000000008098: 92524752
	s_mul_i32 s61, s60, s61                                    // 00000000809C: 923D3D3C
	s_add_u32 s82, s82, s61                                    // 0000000080A0: 80523D52
	v_mul_lo_u32 v7, v4, s82                                   // 0000000080A4: D2850007 0000A504
	v_add_u32_e32 v72, v6, v7                                  // 0000000080AC: 68900F06
	v_readlane_b32 s82, v3, 22                                 // 0000000080B0: D2890052 00012D03
	s_lshr_b32 s61, s82, 24                                    // 0000000080B8: 8F3D9852
	s_and_b32 s82, s82, 0xffffff                               // 0000000080BC: 8652FF52 00FFFFFF
	s_mul_i32 s82, s82, s71                                    // 0000000080C4: 92524752
	s_mul_i32 s61, s60, s61                                    // 0000000080C8: 923D3D3C
	s_add_u32 s82, s82, s61                                    // 0000000080CC: 80523D52
	v_mul_lo_u32 v6, v5, s82                                   // 0000000080D0: D2850006 0000A505
	v_readlane_b32 s82, v3, 23                                 // 0000000080D8: D2890052 00012F03
	s_lshr_b32 s61, s82, 24                                    // 0000000080E0: 8F3D9852
	s_and_b32 s82, s82, 0xffffff                               // 0000000080E4: 8652FF52 00FFFFFF
	s_mul_i32 s82, s82, s71                                    // 0000000080EC: 92524752
	s_mul_i32 s61, s60, s61                                    // 0000000080F0: 923D3D3C
	s_add_u32 s82, s82, s61                                    // 0000000080F4: 80523D52
	v_mul_lo_u32 v7, v4, s82                                   // 0000000080F8: D2850007 0000A504
	v_add_u32_e32 v73, v6, v7                                  // 000000008100: 68920F06
	v_readlane_b32 s82, v3, 24                                 // 000000008104: D2890052 00013103
	s_lshr_b32 s61, s82, 24                                    // 00000000810C: 8F3D9852
	s_and_b32 s82, s82, 0xffffff                               // 000000008110: 8652FF52 00FFFFFF
	s_mul_i32 s82, s82, s71                                    // 000000008118: 92524752
	s_mul_i32 s61, s60, s61                                    // 00000000811C: 923D3D3C
	s_add_u32 s82, s82, s61                                    // 000000008120: 80523D52
	v_mul_lo_u32 v6, v5, s82                                   // 000000008124: D2850006 0000A505
	v_readlane_b32 s82, v3, 25                                 // 00000000812C: D2890052 00013303
	s_lshr_b32 s61, s82, 24                                    // 000000008134: 8F3D9852
	s_and_b32 s82, s82, 0xffffff                               // 000000008138: 8652FF52 00FFFFFF
	s_mul_i32 s82, s82, s71                                    // 000000008140: 92524752
	s_mul_i32 s61, s60, s61                                    // 000000008144: 923D3D3C
	s_add_u32 s82, s82, s61                                    // 000000008148: 80523D52
	v_mul_lo_u32 v7, v4, s82                                   // 00000000814C: D2850007 0000A504
	v_add_u32_e32 v74, v6, v7                                  // 000000008154: 68940F06
	v_readlane_b32 s82, v3, 26                                 // 000000008158: D2890052 00013503
	s_lshr_b32 s61, s82, 24                                    // 000000008160: 8F3D9852
	s_and_b32 s82, s82, 0xffffff                               // 000000008164: 8652FF52 00FFFFFF
	s_mul_i32 s82, s82, s71                                    // 00000000816C: 92524752
	s_mul_i32 s61, s60, s61                                    // 000000008170: 923D3D3C
	s_add_u32 s82, s82, s61                                    // 000000008174: 80523D52
	v_mul_lo_u32 v6, v5, s82                                   // 000000008178: D2850006 0000A505
	v_readlane_b32 s82, v3, 27                                 // 000000008180: D2890052 00013703
	s_lshr_b32 s61, s82, 24                                    // 000000008188: 8F3D9852
	s_and_b32 s82, s82, 0xffffff                               // 00000000818C: 8652FF52 00FFFFFF
	s_mul_i32 s82, s82, s71                                    // 000000008194: 92524752
	s_mul_i32 s61, s60, s61                                    // 000000008198: 923D3D3C
	s_add_u32 s82, s82, s61                                    // 00000000819C: 80523D52
	v_mul_lo_u32 v7, v4, s82                                   // 0000000081A0: D2850007 0000A504
	v_add_u32_e32 v75, v6, v7                                  // 0000000081A8: 68960F06
	v_readlane_b32 s82, v3, 28                                 // 0000000081AC: D2890052 00013903
	s_lshr_b32 s61, s82, 24                                    // 0000000081B4: 8F3D9852
	s_and_b32 s82, s82, 0xffffff                               // 0000000081B8: 8652FF52 00FFFFFF
	s_mul_i32 s82, s82, s71                                    // 0000000081C0: 92524752
	s_mul_i32 s61, s60, s61                                    // 0000000081C4: 923D3D3C
	s_add_u32 s82, s82, s61                                    // 0000000081C8: 80523D52
	v_mul_lo_u32 v6, v5, s82                                   // 0000000081CC: D2850006 0000A505
	v_readlane_b32 s82, v3, 29                                 // 0000000081D4: D2890052 00013B03
	s_lshr_b32 s61, s82, 24                                    // 0000000081DC: 8F3D9852
	s_and_b32 s82, s82, 0xffffff                               // 0000000081E0: 8652FF52 00FFFFFF
	s_mul_i32 s82, s82, s71                                    // 0000000081E8: 92524752
	s_mul_i32 s61, s60, s61                                    // 0000000081EC: 923D3D3C
	s_add_u32 s82, s82, s61                                    // 0000000081F0: 80523D52
	v_mul_lo_u32 v7, v4, s82                                   // 0000000081F4: D2850007 0000A504
	v_add_u32_e32 v76, v6, v7                                  // 0000000081FC: 68980F06
	v_readlane_b32 s82, v3, 30                                 // 000000008200: D2890052 00013D03
	s_lshr_b32 s61, s82, 24                                    // 000000008208: 8F3D9852
	s_and_b32 s82, s82, 0xffffff                               // 00000000820C: 8652FF52 00FFFFFF
	s_mul_i32 s82, s82, s71                                    // 000000008214: 92524752
	s_mul_i32 s61, s60, s61                                    // 000000008218: 923D3D3C
	s_add_u32 s82, s82, s61                                    // 00000000821C: 80523D52
	v_mul_lo_u32 v6, v5, s82                                   // 000000008220: D2850006 0000A505
	v_readlane_b32 s82, v3, 31                                 // 000000008228: D2890052 00013F03
	s_lshr_b32 s61, s82, 24                                    // 000000008230: 8F3D9852
	s_and_b32 s82, s82, 0xffffff                               // 000000008234: 8652FF52 00FFFFFF
	s_mul_i32 s82, s82, s71                                    // 00000000823C: 92524752
	s_mul_i32 s61, s60, s61                                    // 000000008240: 923D3D3C
	s_add_u32 s82, s82, s61                                    // 000000008244: 80523D52
	v_mul_lo_u32 v7, v4, s82                                   // 000000008248: D2850007 0000A504
	v_add_u32_e32 v77, v6, v7                                  // 000000008250: 689A0F06
	v_and_b32_e32 v4, 31, v0                                   // 000000008254: 2608009F
	v_lshrrev_b32_e32 v4, 1, v4                                // 000000008258: 20080881
	s_cmp_eq_u32 s88, 0                                        // 00000000825C: BF068058
	s_cselect_b32 s61, 2, 4                                    // 000000008260: 853D8482
	v_mul_lo_u32 v4, v4, s61                                   // 000000008264: D2850004 00007B04
	v_and_b32_e64 v5, v0, 1                                    // 00000000826C: D1130005 00010300
	v_add_u32_e32 v4, v4, v5                                   // 000000008274: 68080B04
	v_lshlrev_b32_e32 v4, 2, v4                                // 000000008278: 24080882
	v_add_u32_e32 v62, v62, v4                                 // 00000000827C: 687C093E
	v_add_u32_e32 v63, v63, v4                                 // 000000008280: 687E093F
	v_add_u32_e32 v64, v64, v4                                 // 000000008284: 68800940
	v_add_u32_e32 v65, v65, v4                                 // 000000008288: 68820941
	v_add_u32_e32 v66, v66, v4                                 // 00000000828C: 68840942
	v_add_u32_e32 v67, v67, v4                                 // 000000008290: 68860943
	v_add_u32_e32 v68, v68, v4                                 // 000000008294: 68880944
	v_add_u32_e32 v69, v69, v4                                 // 000000008298: 688A0945
	v_add_u32_e32 v70, v70, v4                                 // 00000000829C: 688C0946
	v_add_u32_e32 v71, v71, v4                                 // 0000000082A0: 688E0947
	v_add_u32_e32 v72, v72, v4                                 // 0000000082A4: 68900948
	v_add_u32_e32 v73, v73, v4                                 // 0000000082A8: 68920949
	v_add_u32_e32 v74, v74, v4                                 // 0000000082AC: 6894094A
	v_add_u32_e32 v75, v75, v4                                 // 0000000082B0: 6896094B
	v_add_u32_e32 v76, v76, v4                                 // 0000000082B4: 6898094C
	v_add_u32_e32 v77, v77, v4                                 // 0000000082B8: 689A094D
	s_waitcnt lgkmcnt(0)                                       // 0000000082BC: BF8CC07F
	s_barrier                                                  // 0000000082C0: BF8A0000
	ds_read_b32 v80, v21                                       // 0000000082C4: D86C0000 50000015
	ds_read_b32 v81, v21 offset:64                             // 0000000082CC: D86C0040 51000015
	ds_read_b32 v82, v21 offset:2176                           // 0000000082D4: D86C0880 52000015
	ds_read_b32 v83, v21 offset:2240                           // 0000000082DC: D86C08C0 53000015
	ds_read_b32 v84, v21 offset:4352                           // 0000000082E4: D86C1100 54000015
	ds_read_b32 v85, v21 offset:4416                           // 0000000082EC: D86C1140 55000015
	ds_read_b32 v86, v21 offset:6528                           // 0000000082F4: D86C1980 56000015
	ds_read_b32 v87, v21 offset:6592                           // 0000000082FC: D86C19C0 57000015
	ds_read_b32 v88, v21 offset:8704                           // 000000008304: D86C2200 58000015
	ds_read_b32 v89, v21 offset:8768                           // 00000000830C: D86C2240 59000015
	ds_read_b32 v90, v21 offset:10880                          // 000000008314: D86C2A80 5A000015
	ds_read_b32 v91, v21 offset:10944                          // 00000000831C: D86C2AC0 5B000015
	ds_read_b32 v92, v21 offset:13056                          // 000000008324: D86C3300 5C000015
	ds_read_b32 v93, v21 offset:13120                          // 00000000832C: D86C3340 5D000015
	ds_read_b32 v94, v21 offset:15232                          // 000000008334: D86C3B80 5E000015
	ds_read_b32 v95, v21 offset:15296                          // 00000000833C: D86C3BC0 5F000015
	ds_read_b32 v96, v21 offset:17408                          // 000000008344: D86C4400 60000015
	ds_read_b32 v97, v21 offset:17472                          // 00000000834C: D86C4440 61000015
	ds_read_b32 v98, v21 offset:19584                          // 000000008354: D86C4C80 62000015
	ds_read_b32 v99, v21 offset:19648                          // 00000000835C: D86C4CC0 63000015
	ds_read_b32 v100, v21 offset:21760                         // 000000008364: D86C5500 64000015
	ds_read_b32 v101, v21 offset:21824                         // 00000000836C: D86C5540 65000015
	ds_read_b32 v102, v21 offset:23936                         // 000000008374: D86C5D80 66000015
	ds_read_b32 v103, v21 offset:24000                         // 00000000837C: D86C5DC0 67000015
	ds_read_b32 v104, v21 offset:26112                         // 000000008384: D86C6600 68000015
	ds_read_b32 v105, v21 offset:26176                         // 00000000838C: D86C6640 69000015
	ds_read_b32 v106, v21 offset:28288                         // 000000008394: D86C6E80 6A000015
	ds_read_b32 v107, v21 offset:28352                         // 00000000839C: D86C6EC0 6B000015
	ds_read_b32 v108, v21 offset:30464                         // 0000000083A4: D86C7700 6C000015
	ds_read_b32 v109, v21 offset:30528                         // 0000000083AC: D86C7740 6D000015
	ds_read_b32 v110, v21 offset:32640                         // 0000000083B4: D86C7F80 6E000015
	ds_read_b32 v111, v21 offset:32704                         // 0000000083BC: D86C7FC0 6F000015
	s_waitcnt lgkmcnt(0)                                       // 0000000083C4: BF8CC07F
	s_mov_b32 s36, -1                                          // 0000000083C8: BEA400C1
	s_mov_b32 s37, -1                                          // 0000000083CC: BEA500C1
	v_mov_b32_e32 v7, 0                                        // 0000000083D0: 7E0E0280
	s_or_b32 s9, s9, 0x40000                                   // 0000000083D4: 8709FF09 00040000
	s_mov_b64 exec, s[36:37]                                   // 0000000083DC: BEFE0124
	v_mov_b32_e32 v6, v62                                      // 0000000083E0: 7E0C033E
	s_mov_b64 s[60:61], 0                                      // 0000000083E4: BEBC0180
	v_readlane_b32 s82, v3, 0                                  // 0000000083E8: D2890052 00010103
	s_and_b32 s82, s82, 0xffffff                               // 0000000083F0: 8652FF52 00FFFFFF
	s_cmp_lt_u32 s82, s66                                      // 0000000083F8: BF0A4252
	s_cselect_b32 s20, s36, s60                                // 0000000083FC: 85143C24
	v_readlane_b32 s82, v3, 1                                  // 000000008400: D2890052 00010303
	s_and_b32 s82, s82, 0xffffff                               // 000000008408: 8652FF52 00FFFFFF
	s_cmp_lt_u32 s82, s66                                      // 000000008410: BF0A4252
	s_cselect_b32 s21, s36, s60                                // 000000008414: 85153C24
	s_mov_b64 exec, s[20:21]                                   // 000000008418: BEFE0114
	buffer_store_dword v80, v6, s[8:11], 0 offen               // 00000000841C: E0701000 80025006
	buffer_store_dword v82, v6, s[8:11], 0 offen offset:128    // 000000008424: E0701080 80025206
	s_mov_b64 exec, s[36:37]                                   // 00000000842C: BEFE0124
	v_mov_b32_e32 v6, v63                                      // 000000008430: 7E0C033F
	s_mov_b64 s[60:61], 0                                      // 000000008434: BEBC0180
	v_readlane_b32 s82, v3, 2                                  // 000000008438: D2890052 00010503
	s_and_b32 s82, s82, 0xffffff                               // 000000008440: 8652FF52 00FFFFFF
	s_cmp_lt_u32 s82, s66                                      // 000000008448: BF0A4252
	s_cselect_b32 s20, s36, s60                                // 00000000844C: 85143C24
	v_readlane_b32 s82, v3, 3                                  // 000000008450: D2890052 00010703
	s_and_b32 s82, s82, 0xffffff                               // 000000008458: 8652FF52 00FFFFFF
	s_cmp_lt_u32 s82, s66                                      // 000000008460: BF0A4252
	s_cselect_b32 s21, s36, s60                                // 000000008464: 85153C24
	s_mov_b64 exec, s[20:21]                                   // 000000008468: BEFE0114
	buffer_store_dword v81, v6, s[8:11], 0 offen               // 00000000846C: E0701000 80025106
	buffer_store_dword v83, v6, s[8:11], 0 offen offset:128    // 000000008474: E0701080 80025306
	s_mov_b64 exec, s[36:37]                                   // 00000000847C: BEFE0124
	v_mov_b32_e32 v6, v64                                      // 000000008480: 7E0C0340
	s_mov_b64 s[60:61], 0                                      // 000000008484: BEBC0180
	v_readlane_b32 s82, v3, 4                                  // 000000008488: D2890052 00010903
	s_and_b32 s82, s82, 0xffffff                               // 000000008490: 8652FF52 00FFFFFF
	s_cmp_lt_u32 s82, s66                                      // 000000008498: BF0A4252
	s_cselect_b32 s20, s36, s60                                // 00000000849C: 85143C24
	v_readlane_b32 s82, v3, 5                                  // 0000000084A0: D2890052 00010B03
	s_and_b32 s82, s82, 0xffffff                               // 0000000084A8: 8652FF52 00FFFFFF
	s_cmp_lt_u32 s82, s66                                      // 0000000084B0: BF0A4252
	s_cselect_b32 s21, s36, s60                                // 0000000084B4: 85153C24
	s_mov_b64 exec, s[20:21]                                   // 0000000084B8: BEFE0114
	buffer_store_dword v84, v6, s[8:11], 0 offen               // 0000000084BC: E0701000 80025406
	buffer_store_dword v86, v6, s[8:11], 0 offen offset:128    // 0000000084C4: E0701080 80025606
	s_mov_b64 exec, s[36:37]                                   // 0000000084CC: BEFE0124
	v_mov_b32_e32 v6, v65                                      // 0000000084D0: 7E0C0341
	s_mov_b64 s[60:61], 0                                      // 0000000084D4: BEBC0180
	v_readlane_b32 s82, v3, 6                                  // 0000000084D8: D2890052 00010D03
	s_and_b32 s82, s82, 0xffffff                               // 0000000084E0: 8652FF52 00FFFFFF
	s_cmp_lt_u32 s82, s66                                      // 0000000084E8: BF0A4252
	s_cselect_b32 s20, s36, s60                                // 0000000084EC: 85143C24
	v_readlane_b32 s82, v3, 7                                  // 0000000084F0: D2890052 00010F03
	s_and_b32 s82, s82, 0xffffff                               // 0000000084F8: 8652FF52 00FFFFFF
	s_cmp_lt_u32 s82, s66                                      // 000000008500: BF0A4252
	s_cselect_b32 s21, s36, s60                                // 000000008504: 85153C24
	s_mov_b64 exec, s[20:21]                                   // 000000008508: BEFE0114
	buffer_store_dword v85, v6, s[8:11], 0 offen               // 00000000850C: E0701000 80025506
	buffer_store_dword v87, v6, s[8:11], 0 offen offset:128    // 000000008514: E0701080 80025706
	s_mov_b64 exec, s[36:37]                                   // 00000000851C: BEFE0124
	v_mov_b32_e32 v6, v66                                      // 000000008520: 7E0C0342
	s_mov_b64 s[60:61], 0                                      // 000000008524: BEBC0180
	v_readlane_b32 s82, v3, 8                                  // 000000008528: D2890052 00011103
	s_and_b32 s82, s82, 0xffffff                               // 000000008530: 8652FF52 00FFFFFF
	s_cmp_lt_u32 s82, s66                                      // 000000008538: BF0A4252
	s_cselect_b32 s20, s36, s60                                // 00000000853C: 85143C24
	v_readlane_b32 s82, v3, 9                                  // 000000008540: D2890052 00011303
	s_and_b32 s82, s82, 0xffffff                               // 000000008548: 8652FF52 00FFFFFF
	s_cmp_lt_u32 s82, s66                                      // 000000008550: BF0A4252
	s_cselect_b32 s21, s36, s60                                // 000000008554: 85153C24
	s_mov_b64 exec, s[20:21]                                   // 000000008558: BEFE0114
	buffer_store_dword v88, v6, s[8:11], 0 offen               // 00000000855C: E0701000 80025806
	buffer_store_dword v90, v6, s[8:11], 0 offen offset:128    // 000000008564: E0701080 80025A06
	s_mov_b64 exec, s[36:37]                                   // 00000000856C: BEFE0124
	v_mov_b32_e32 v6, v67                                      // 000000008570: 7E0C0343
	s_mov_b64 s[60:61], 0                                      // 000000008574: BEBC0180
	v_readlane_b32 s82, v3, 10                                 // 000000008578: D2890052 00011503
	s_and_b32 s82, s82, 0xffffff                               // 000000008580: 8652FF52 00FFFFFF
	s_cmp_lt_u32 s82, s66                                      // 000000008588: BF0A4252
	s_cselect_b32 s20, s36, s60                                // 00000000858C: 85143C24
	v_readlane_b32 s82, v3, 11                                 // 000000008590: D2890052 00011703
	s_and_b32 s82, s82, 0xffffff                               // 000000008598: 8652FF52 00FFFFFF
	s_cmp_lt_u32 s82, s66                                      // 0000000085A0: BF0A4252
	s_cselect_b32 s21, s36, s60                                // 0000000085A4: 85153C24
	s_mov_b64 exec, s[20:21]                                   // 0000000085A8: BEFE0114
	buffer_store_dword v89, v6, s[8:11], 0 offen               // 0000000085AC: E0701000 80025906
	buffer_store_dword v91, v6, s[8:11], 0 offen offset:128    // 0000000085B4: E0701080 80025B06
	s_mov_b64 exec, s[36:37]                                   // 0000000085BC: BEFE0124
	v_mov_b32_e32 v6, v68                                      // 0000000085C0: 7E0C0344
	s_mov_b64 s[60:61], 0                                      // 0000000085C4: BEBC0180
	v_readlane_b32 s82, v3, 12                                 // 0000000085C8: D2890052 00011903
	s_and_b32 s82, s82, 0xffffff                               // 0000000085D0: 8652FF52 00FFFFFF
	s_cmp_lt_u32 s82, s66                                      // 0000000085D8: BF0A4252
	s_cselect_b32 s20, s36, s60                                // 0000000085DC: 85143C24
	v_readlane_b32 s82, v3, 13                                 // 0000000085E0: D2890052 00011B03
	s_and_b32 s82, s82, 0xffffff                               // 0000000085E8: 8652FF52 00FFFFFF
	s_cmp_lt_u32 s82, s66                                      // 0000000085F0: BF0A4252
	s_cselect_b32 s21, s36, s60                                // 0000000085F4: 85153C24
	s_mov_b64 exec, s[20:21]                                   // 0000000085F8: BEFE0114
	buffer_store_dword v92, v6, s[8:11], 0 offen               // 0000000085FC: E0701000 80025C06
	buffer_store_dword v94, v6, s[8:11], 0 offen offset:128    // 000000008604: E0701080 80025E06
	s_mov_b64 exec, s[36:37]                                   // 00000000860C: BEFE0124
	v_mov_b32_e32 v6, v69                                      // 000000008610: 7E0C0345
	s_mov_b64 s[60:61], 0                                      // 000000008614: BEBC0180
	v_readlane_b32 s82, v3, 14                                 // 000000008618: D2890052 00011D03
	s_and_b32 s82, s82, 0xffffff                               // 000000008620: 8652FF52 00FFFFFF
	s_cmp_lt_u32 s82, s66                                      // 000000008628: BF0A4252
	s_cselect_b32 s20, s36, s60                                // 00000000862C: 85143C24
	v_readlane_b32 s82, v3, 15                                 // 000000008630: D2890052 00011F03
	s_and_b32 s82, s82, 0xffffff                               // 000000008638: 8652FF52 00FFFFFF
	s_cmp_lt_u32 s82, s66                                      // 000000008640: BF0A4252
	s_cselect_b32 s21, s36, s60                                // 000000008644: 85153C24
	s_mov_b64 exec, s[20:21]                                   // 000000008648: BEFE0114
	buffer_store_dword v93, v6, s[8:11], 0 offen               // 00000000864C: E0701000 80025D06
	buffer_store_dword v95, v6, s[8:11], 0 offen offset:128    // 000000008654: E0701080 80025F06
	s_mov_b64 exec, s[36:37]                                   // 00000000865C: BEFE0124
	v_mov_b32_e32 v6, v70                                      // 000000008660: 7E0C0346
	s_mov_b64 s[60:61], 0                                      // 000000008664: BEBC0180
	v_readlane_b32 s82, v3, 16                                 // 000000008668: D2890052 00012103
	s_and_b32 s82, s82, 0xffffff                               // 000000008670: 8652FF52 00FFFFFF
	s_cmp_lt_u32 s82, s66                                      // 000000008678: BF0A4252
	s_cselect_b32 s20, s36, s60                                // 00000000867C: 85143C24
	v_readlane_b32 s82, v3, 17                                 // 000000008680: D2890052 00012303
	s_and_b32 s82, s82, 0xffffff                               // 000000008688: 8652FF52 00FFFFFF
	s_cmp_lt_u32 s82, s66                                      // 000000008690: BF0A4252
	s_cselect_b32 s21, s36, s60                                // 000000008694: 85153C24
	s_mov_b64 exec, s[20:21]                                   // 000000008698: BEFE0114
	buffer_store_dword v96, v6, s[8:11], 0 offen               // 00000000869C: E0701000 80026006
	buffer_store_dword v98, v6, s[8:11], 0 offen offset:128    // 0000000086A4: E0701080 80026206
	s_mov_b64 exec, s[36:37]                                   // 0000000086AC: BEFE0124
	v_mov_b32_e32 v6, v71                                      // 0000000086B0: 7E0C0347
	s_mov_b64 s[60:61], 0                                      // 0000000086B4: BEBC0180
	v_readlane_b32 s82, v3, 18                                 // 0000000086B8: D2890052 00012503
	s_and_b32 s82, s82, 0xffffff                               // 0000000086C0: 8652FF52 00FFFFFF
	s_cmp_lt_u32 s82, s66                                      // 0000000086C8: BF0A4252
	s_cselect_b32 s20, s36, s60                                // 0000000086CC: 85143C24
	v_readlane_b32 s82, v3, 19                                 // 0000000086D0: D2890052 00012703
	s_and_b32 s82, s82, 0xffffff                               // 0000000086D8: 8652FF52 00FFFFFF
	s_cmp_lt_u32 s82, s66                                      // 0000000086E0: BF0A4252
	s_cselect_b32 s21, s36, s60                                // 0000000086E4: 85153C24
	s_mov_b64 exec, s[20:21]                                   // 0000000086E8: BEFE0114
	buffer_store_dword v97, v6, s[8:11], 0 offen               // 0000000086EC: E0701000 80026106
	buffer_store_dword v99, v6, s[8:11], 0 offen offset:128    // 0000000086F4: E0701080 80026306
	s_mov_b64 exec, s[36:37]                                   // 0000000086FC: BEFE0124
	v_mov_b32_e32 v6, v72                                      // 000000008700: 7E0C0348
	s_mov_b64 s[60:61], 0                                      // 000000008704: BEBC0180
	v_readlane_b32 s82, v3, 20                                 // 000000008708: D2890052 00012903
	s_and_b32 s82, s82, 0xffffff                               // 000000008710: 8652FF52 00FFFFFF
	s_cmp_lt_u32 s82, s66                                      // 000000008718: BF0A4252
	s_cselect_b32 s20, s36, s60                                // 00000000871C: 85143C24
	v_readlane_b32 s82, v3, 21                                 // 000000008720: D2890052 00012B03
	s_and_b32 s82, s82, 0xffffff                               // 000000008728: 8652FF52 00FFFFFF
	s_cmp_lt_u32 s82, s66                                      // 000000008730: BF0A4252
	s_cselect_b32 s21, s36, s60                                // 000000008734: 85153C24
	s_mov_b64 exec, s[20:21]                                   // 000000008738: BEFE0114
	buffer_store_dword v100, v6, s[8:11], 0 offen              // 00000000873C: E0701000 80026406
	buffer_store_dword v102, v6, s[8:11], 0 offen offset:128   // 000000008744: E0701080 80026606
	s_mov_b64 exec, s[36:37]                                   // 00000000874C: BEFE0124
	v_mov_b32_e32 v6, v73                                      // 000000008750: 7E0C0349
	s_mov_b64 s[60:61], 0                                      // 000000008754: BEBC0180
	v_readlane_b32 s82, v3, 22                                 // 000000008758: D2890052 00012D03
	s_and_b32 s82, s82, 0xffffff                               // 000000008760: 8652FF52 00FFFFFF
	s_cmp_lt_u32 s82, s66                                      // 000000008768: BF0A4252
	s_cselect_b32 s20, s36, s60                                // 00000000876C: 85143C24
	v_readlane_b32 s82, v3, 23                                 // 000000008770: D2890052 00012F03
	s_and_b32 s82, s82, 0xffffff                               // 000000008778: 8652FF52 00FFFFFF
	s_cmp_lt_u32 s82, s66                                      // 000000008780: BF0A4252
	s_cselect_b32 s21, s36, s60                                // 000000008784: 85153C24
	s_mov_b64 exec, s[20:21]                                   // 000000008788: BEFE0114
	buffer_store_dword v101, v6, s[8:11], 0 offen              // 00000000878C: E0701000 80026506
	buffer_store_dword v103, v6, s[8:11], 0 offen offset:128   // 000000008794: E0701080 80026706
	s_mov_b64 exec, s[36:37]                                   // 00000000879C: BEFE0124
	v_mov_b32_e32 v6, v74                                      // 0000000087A0: 7E0C034A
	s_mov_b64 s[60:61], 0                                      // 0000000087A4: BEBC0180
	v_readlane_b32 s82, v3, 24                                 // 0000000087A8: D2890052 00013103
	s_and_b32 s82, s82, 0xffffff                               // 0000000087B0: 8652FF52 00FFFFFF
	s_cmp_lt_u32 s82, s66                                      // 0000000087B8: BF0A4252
	s_cselect_b32 s20, s36, s60                                // 0000000087BC: 85143C24
	v_readlane_b32 s82, v3, 25                                 // 0000000087C0: D2890052 00013303
	s_and_b32 s82, s82, 0xffffff                               // 0000000087C8: 8652FF52 00FFFFFF
	s_cmp_lt_u32 s82, s66                                      // 0000000087D0: BF0A4252
	s_cselect_b32 s21, s36, s60                                // 0000000087D4: 85153C24
	s_mov_b64 exec, s[20:21]                                   // 0000000087D8: BEFE0114
	buffer_store_dword v104, v6, s[8:11], 0 offen              // 0000000087DC: E0701000 80026806
	buffer_store_dword v106, v6, s[8:11], 0 offen offset:128   // 0000000087E4: E0701080 80026A06
	s_mov_b64 exec, s[36:37]                                   // 0000000087EC: BEFE0124
	v_mov_b32_e32 v6, v75                                      // 0000000087F0: 7E0C034B
	s_mov_b64 s[60:61], 0                                      // 0000000087F4: BEBC0180
	v_readlane_b32 s82, v3, 26                                 // 0000000087F8: D2890052 00013503
	s_and_b32 s82, s82, 0xffffff                               // 000000008800: 8652FF52 00FFFFFF
	s_cmp_lt_u32 s82, s66                                      // 000000008808: BF0A4252
	s_cselect_b32 s20, s36, s60                                // 00000000880C: 85143C24
	v_readlane_b32 s82, v3, 27                                 // 000000008810: D2890052 00013703
	s_and_b32 s82, s82, 0xffffff                               // 000000008818: 8652FF52 00FFFFFF
	s_cmp_lt_u32 s82, s66                                      // 000000008820: BF0A4252
	s_cselect_b32 s21, s36, s60                                // 000000008824: 85153C24
	s_mov_b64 exec, s[20:21]                                   // 000000008828: BEFE0114
	buffer_store_dword v105, v6, s[8:11], 0 offen              // 00000000882C: E0701000 80026906
	buffer_store_dword v107, v6, s[8:11], 0 offen offset:128   // 000000008834: E0701080 80026B06
	s_mov_b64 exec, s[36:37]                                   // 00000000883C: BEFE0124
	v_mov_b32_e32 v6, v76                                      // 000000008840: 7E0C034C
	s_mov_b64 s[60:61], 0                                      // 000000008844: BEBC0180
	v_readlane_b32 s82, v3, 28                                 // 000000008848: D2890052 00013903
	s_and_b32 s82, s82, 0xffffff                               // 000000008850: 8652FF52 00FFFFFF
	s_cmp_lt_u32 s82, s66                                      // 000000008858: BF0A4252
	s_cselect_b32 s20, s36, s60                                // 00000000885C: 85143C24
	v_readlane_b32 s82, v3, 29                                 // 000000008860: D2890052 00013B03
	s_and_b32 s82, s82, 0xffffff                               // 000000008868: 8652FF52 00FFFFFF
	s_cmp_lt_u32 s82, s66                                      // 000000008870: BF0A4252
	s_cselect_b32 s21, s36, s60                                // 000000008874: 85153C24
	s_mov_b64 exec, s[20:21]                                   // 000000008878: BEFE0114
	buffer_store_dword v108, v6, s[8:11], 0 offen              // 00000000887C: E0701000 80026C06
	buffer_store_dword v110, v6, s[8:11], 0 offen offset:128   // 000000008884: E0701080 80026E06
	s_mov_b64 exec, s[36:37]                                   // 00000000888C: BEFE0124
	v_mov_b32_e32 v6, v77                                      // 000000008890: 7E0C034D
	s_mov_b64 s[60:61], 0                                      // 000000008894: BEBC0180
	v_readlane_b32 s82, v3, 30                                 // 000000008898: D2890052 00013D03
	s_and_b32 s82, s82, 0xffffff                               // 0000000088A0: 8652FF52 00FFFFFF
	s_cmp_lt_u32 s82, s66                                      // 0000000088A8: BF0A4252
	s_cselect_b32 s20, s36, s60                                // 0000000088AC: 85143C24
	v_readlane_b32 s82, v3, 31                                 // 0000000088B0: D2890052 00013F03
	s_and_b32 s82, s82, 0xffffff                               // 0000000088B8: 8652FF52 00FFFFFF
	s_cmp_lt_u32 s82, s66                                      // 0000000088C0: BF0A4252
	s_cselect_b32 s21, s36, s60                                // 0000000088C4: 85153C24
	s_mov_b64 exec, s[20:21]                                   // 0000000088C8: BEFE0114
	buffer_store_dword v109, v6, s[8:11], 0 offen              // 0000000088CC: E0701000 80026D06
	buffer_store_dword v111, v6, s[8:11], 0 offen offset:128   // 0000000088D4: E0701080 80026F06
	s_mov_b64 exec, s[36:37]                                   // 0000000088DC: BEFE0124
	s_branch label_3BEE                                        // 0000000088E0: BF822432

00000000000088e4 <label_17B9>:
	ds_write_b64 v20, v[80:81]                                 // 0000000088E4: D89A0000 00005014
	ds_write_b64 v20, v[84:85] offset:4352                     // 0000000088EC: D89A1100 00005414
	ds_write_b64 v20, v[88:89] offset:8704                     // 0000000088F4: D89A2200 00005814
	ds_write_b64 v20, v[92:93] offset:13056                    // 0000000088FC: D89A3300 00005C14
	ds_write_b64 v20, v[96:97] offset:17408                    // 000000008904: D89A4400 00006014
	ds_write_b64 v20, v[100:101] offset:21760                  // 00000000890C: D89A5500 00006414
	ds_write_b64 v20, v[104:105] offset:26112                  // 000000008914: D89A6600 00006814
	ds_write_b64 v20, v[108:109] offset:30464                  // 00000000891C: D89A7700 00006C14
	ds_write_b64 v20, v[112:113] offset:2176                   // 000000008924: D89A0880 00007014
	ds_write_b64 v20, v[116:117] offset:6528                   // 00000000892C: D89A1980 00007414
	ds_write_b64 v20, v[120:121] offset:10880                  // 000000008934: D89A2A80 00007814
	ds_write_b64 v20, v[124:125] offset:15232                  // 00000000893C: D89A3B80 00007C14
	ds_write_b64 v20, v[128:129] offset:19584                  // 000000008944: D89A4C80 00008014
	ds_write_b64 v20, v[132:133] offset:23936                  // 00000000894C: D89A5D80 00008414
	ds_write_b64 v20, v[136:137] offset:28288                  // 000000008954: D89A6E80 00008814
	ds_write_b64 v20, v[140:141] offset:32640                  // 00000000895C: D89A7F80 00008C14
	v_lshrrev_b32_e32 v4, 5, v0                                // 000000008964: 20080085
	v_xor_b32_e32 v5, 1, v4                                    // 000000008968: 2A0A0881
	s_mul_i32 s60, s65, 2                                      // 00000000896C: 923C8241
	s_cmp_eq_u32 s88, 0                                        // 000000008970: BF068058
	s_cselect_b32 s61, 1, 4                                    // 000000008974: 853D8481
	s_mul_i32 s60, s61, s60                                    // 000000008978: 923C3C3D
	v_readlane_b32 s82, v3, 0                                  // 00000000897C: D2890052 00010103
	s_lshr_b32 s61, s82, 24                                    // 000000008984: 8F3D9852
	s_and_b32 s82, s82, 0xffffff                               // 000000008988: 8652FF52 00FFFFFF
	s_mul_i32 s82, s82, s71                                    // 000000008990: 92524752
	s_mul_i32 s61, s60, s61                                    // 000000008994: 923D3D3C
	s_add_u32 s82, s82, s61                                    // 000000008998: 80523D52
	v_mul_lo_u32 v6, v5, s82                                   // 00000000899C: D2850006 0000A505
	v_readlane_b32 s82, v3, 1                                  // 0000000089A4: D2890052 00010303
	s_lshr_b32 s61, s82, 24                                    // 0000000089AC: 8F3D9852
	s_and_b32 s82, s82, 0xffffff                               // 0000000089B0: 8652FF52 00FFFFFF
	s_mul_i32 s82, s82, s71                                    // 0000000089B8: 92524752
	s_mul_i32 s61, s60, s61                                    // 0000000089BC: 923D3D3C
	s_add_u32 s82, s82, s61                                    // 0000000089C0: 80523D52
	v_mul_lo_u32 v7, v4, s82                                   // 0000000089C4: D2850007 0000A504
	v_add_u32_e32 v62, v6, v7                                  // 0000000089CC: 687C0F06
	v_readlane_b32 s82, v3, 2                                  // 0000000089D0: D2890052 00010503
	s_lshr_b32 s61, s82, 24                                    // 0000000089D8: 8F3D9852
	s_and_b32 s82, s82, 0xffffff                               // 0000000089DC: 8652FF52 00FFFFFF
	s_mul_i32 s82, s82, s71                                    // 0000000089E4: 92524752
	s_mul_i32 s61, s60, s61                                    // 0000000089E8: 923D3D3C
	s_add_u32 s82, s82, s61                                    // 0000000089EC: 80523D52
	v_mul_lo_u32 v6, v5, s82                                   // 0000000089F0: D2850006 0000A505
	v_readlane_b32 s82, v3, 3                                  // 0000000089F8: D2890052 00010703
	s_lshr_b32 s61, s82, 24                                    // 000000008A00: 8F3D9852
	s_and_b32 s82, s82, 0xffffff                               // 000000008A04: 8652FF52 00FFFFFF
	s_mul_i32 s82, s82, s71                                    // 000000008A0C: 92524752
	s_mul_i32 s61, s60, s61                                    // 000000008A10: 923D3D3C
	s_add_u32 s82, s82, s61                                    // 000000008A14: 80523D52
	v_mul_lo_u32 v7, v4, s82                                   // 000000008A18: D2850007 0000A504
	v_add_u32_e32 v63, v6, v7                                  // 000000008A20: 687E0F06
	v_readlane_b32 s82, v3, 4                                  // 000000008A24: D2890052 00010903
	s_lshr_b32 s61, s82, 24                                    // 000000008A2C: 8F3D9852
	s_and_b32 s82, s82, 0xffffff                               // 000000008A30: 8652FF52 00FFFFFF
	s_mul_i32 s82, s82, s71                                    // 000000008A38: 92524752
	s_mul_i32 s61, s60, s61                                    // 000000008A3C: 923D3D3C
	s_add_u32 s82, s82, s61                                    // 000000008A40: 80523D52
	v_mul_lo_u32 v6, v5, s82                                   // 000000008A44: D2850006 0000A505
	v_readlane_b32 s82, v3, 5                                  // 000000008A4C: D2890052 00010B03
	s_lshr_b32 s61, s82, 24                                    // 000000008A54: 8F3D9852
	s_and_b32 s82, s82, 0xffffff                               // 000000008A58: 8652FF52 00FFFFFF
	s_mul_i32 s82, s82, s71                                    // 000000008A60: 92524752
	s_mul_i32 s61, s60, s61                                    // 000000008A64: 923D3D3C
	s_add_u32 s82, s82, s61                                    // 000000008A68: 80523D52
	v_mul_lo_u32 v7, v4, s82                                   // 000000008A6C: D2850007 0000A504
	v_add_u32_e32 v64, v6, v7                                  // 000000008A74: 68800F06
	v_readlane_b32 s82, v3, 6                                  // 000000008A78: D2890052 00010D03
	s_lshr_b32 s61, s82, 24                                    // 000000008A80: 8F3D9852
	s_and_b32 s82, s82, 0xffffff                               // 000000008A84: 8652FF52 00FFFFFF
	s_mul_i32 s82, s82, s71                                    // 000000008A8C: 92524752
	s_mul_i32 s61, s60, s61                                    // 000000008A90: 923D3D3C
	s_add_u32 s82, s82, s61                                    // 000000008A94: 80523D52
	v_mul_lo_u32 v6, v5, s82                                   // 000000008A98: D2850006 0000A505
	v_readlane_b32 s82, v3, 7                                  // 000000008AA0: D2890052 00010F03
	s_lshr_b32 s61, s82, 24                                    // 000000008AA8: 8F3D9852
	s_and_b32 s82, s82, 0xffffff                               // 000000008AAC: 8652FF52 00FFFFFF
	s_mul_i32 s82, s82, s71                                    // 000000008AB4: 92524752
	s_mul_i32 s61, s60, s61                                    // 000000008AB8: 923D3D3C
	s_add_u32 s82, s82, s61                                    // 000000008ABC: 80523D52
	v_mul_lo_u32 v7, v4, s82                                   // 000000008AC0: D2850007 0000A504
	v_add_u32_e32 v65, v6, v7                                  // 000000008AC8: 68820F06
	v_readlane_b32 s82, v3, 8                                  // 000000008ACC: D2890052 00011103
	s_lshr_b32 s61, s82, 24                                    // 000000008AD4: 8F3D9852
	s_and_b32 s82, s82, 0xffffff                               // 000000008AD8: 8652FF52 00FFFFFF
	s_mul_i32 s82, s82, s71                                    // 000000008AE0: 92524752
	s_mul_i32 s61, s60, s61                                    // 000000008AE4: 923D3D3C
	s_add_u32 s82, s82, s61                                    // 000000008AE8: 80523D52
	v_mul_lo_u32 v6, v5, s82                                   // 000000008AEC: D2850006 0000A505
	v_readlane_b32 s82, v3, 9                                  // 000000008AF4: D2890052 00011303
	s_lshr_b32 s61, s82, 24                                    // 000000008AFC: 8F3D9852
	s_and_b32 s82, s82, 0xffffff                               // 000000008B00: 8652FF52 00FFFFFF
	s_mul_i32 s82, s82, s71                                    // 000000008B08: 92524752
	s_mul_i32 s61, s60, s61                                    // 000000008B0C: 923D3D3C
	s_add_u32 s82, s82, s61                                    // 000000008B10: 80523D52
	v_mul_lo_u32 v7, v4, s82                                   // 000000008B14: D2850007 0000A504
	v_add_u32_e32 v66, v6, v7                                  // 000000008B1C: 68840F06
	v_readlane_b32 s82, v3, 10                                 // 000000008B20: D2890052 00011503
	s_lshr_b32 s61, s82, 24                                    // 000000008B28: 8F3D9852
	s_and_b32 s82, s82, 0xffffff                               // 000000008B2C: 8652FF52 00FFFFFF
	s_mul_i32 s82, s82, s71                                    // 000000008B34: 92524752
	s_mul_i32 s61, s60, s61                                    // 000000008B38: 923D3D3C
	s_add_u32 s82, s82, s61                                    // 000000008B3C: 80523D52
	v_mul_lo_u32 v6, v5, s82                                   // 000000008B40: D2850006 0000A505
	v_readlane_b32 s82, v3, 11                                 // 000000008B48: D2890052 00011703
	s_lshr_b32 s61, s82, 24                                    // 000000008B50: 8F3D9852
	s_and_b32 s82, s82, 0xffffff                               // 000000008B54: 8652FF52 00FFFFFF
	s_mul_i32 s82, s82, s71                                    // 000000008B5C: 92524752
	s_mul_i32 s61, s60, s61                                    // 000000008B60: 923D3D3C
	s_add_u32 s82, s82, s61                                    // 000000008B64: 80523D52
	v_mul_lo_u32 v7, v4, s82                                   // 000000008B68: D2850007 0000A504
	v_add_u32_e32 v67, v6, v7                                  // 000000008B70: 68860F06
	v_readlane_b32 s82, v3, 12                                 // 000000008B74: D2890052 00011903
	s_lshr_b32 s61, s82, 24                                    // 000000008B7C: 8F3D9852
	s_and_b32 s82, s82, 0xffffff                               // 000000008B80: 8652FF52 00FFFFFF
	s_mul_i32 s82, s82, s71                                    // 000000008B88: 92524752
	s_mul_i32 s61, s60, s61                                    // 000000008B8C: 923D3D3C
	s_add_u32 s82, s82, s61                                    // 000000008B90: 80523D52
	v_mul_lo_u32 v6, v5, s82                                   // 000000008B94: D2850006 0000A505
	v_readlane_b32 s82, v3, 13                                 // 000000008B9C: D2890052 00011B03
	s_lshr_b32 s61, s82, 24                                    // 000000008BA4: 8F3D9852
	s_and_b32 s82, s82, 0xffffff                               // 000000008BA8: 8652FF52 00FFFFFF
	s_mul_i32 s82, s82, s71                                    // 000000008BB0: 92524752
	s_mul_i32 s61, s60, s61                                    // 000000008BB4: 923D3D3C
	s_add_u32 s82, s82, s61                                    // 000000008BB8: 80523D52
	v_mul_lo_u32 v7, v4, s82                                   // 000000008BBC: D2850007 0000A504
	v_add_u32_e32 v68, v6, v7                                  // 000000008BC4: 68880F06
	v_readlane_b32 s82, v3, 14                                 // 000000008BC8: D2890052 00011D03
	s_lshr_b32 s61, s82, 24                                    // 000000008BD0: 8F3D9852
	s_and_b32 s82, s82, 0xffffff                               // 000000008BD4: 8652FF52 00FFFFFF
	s_mul_i32 s82, s82, s71                                    // 000000008BDC: 92524752
	s_mul_i32 s61, s60, s61                                    // 000000008BE0: 923D3D3C
	s_add_u32 s82, s82, s61                                    // 000000008BE4: 80523D52
	v_mul_lo_u32 v6, v5, s82                                   // 000000008BE8: D2850006 0000A505
	v_readlane_b32 s82, v3, 15                                 // 000000008BF0: D2890052 00011F03
	s_lshr_b32 s61, s82, 24                                    // 000000008BF8: 8F3D9852
	s_and_b32 s82, s82, 0xffffff                               // 000000008BFC: 8652FF52 00FFFFFF
	s_mul_i32 s82, s82, s71                                    // 000000008C04: 92524752
	s_mul_i32 s61, s60, s61                                    // 000000008C08: 923D3D3C
	s_add_u32 s82, s82, s61                                    // 000000008C0C: 80523D52
	v_mul_lo_u32 v7, v4, s82                                   // 000000008C10: D2850007 0000A504
	v_add_u32_e32 v69, v6, v7                                  // 000000008C18: 688A0F06
	v_readlane_b32 s82, v3, 16                                 // 000000008C1C: D2890052 00012103
	s_lshr_b32 s61, s82, 24                                    // 000000008C24: 8F3D9852
	s_and_b32 s82, s82, 0xffffff                               // 000000008C28: 8652FF52 00FFFFFF
	s_mul_i32 s82, s82, s71                                    // 000000008C30: 92524752
	s_mul_i32 s61, s60, s61                                    // 000000008C34: 923D3D3C
	s_add_u32 s82, s82, s61                                    // 000000008C38: 80523D52
	v_mul_lo_u32 v6, v5, s82                                   // 000000008C3C: D2850006 0000A505
	v_readlane_b32 s82, v3, 17                                 // 000000008C44: D2890052 00012303
	s_lshr_b32 s61, s82, 24                                    // 000000008C4C: 8F3D9852
	s_and_b32 s82, s82, 0xffffff                               // 000000008C50: 8652FF52 00FFFFFF
	s_mul_i32 s82, s82, s71                                    // 000000008C58: 92524752
	s_mul_i32 s61, s60, s61                                    // 000000008C5C: 923D3D3C
	s_add_u32 s82, s82, s61                                    // 000000008C60: 80523D52
	v_mul_lo_u32 v7, v4, s82                                   // 000000008C64: D2850007 0000A504
	v_add_u32_e32 v70, v6, v7                                  // 000000008C6C: 688C0F06
	v_readlane_b32 s82, v3, 18                                 // 000000008C70: D2890052 00012503
	s_lshr_b32 s61, s82, 24                                    // 000000008C78: 8F3D9852
	s_and_b32 s82, s82, 0xffffff                               // 000000008C7C: 8652FF52 00FFFFFF
	s_mul_i32 s82, s82, s71                                    // 000000008C84: 92524752
	s_mul_i32 s61, s60, s61                                    // 000000008C88: 923D3D3C
	s_add_u32 s82, s82, s61                                    // 000000008C8C: 80523D52
	v_mul_lo_u32 v6, v5, s82                                   // 000000008C90: D2850006 0000A505
	v_readlane_b32 s82, v3, 19                                 // 000000008C98: D2890052 00012703
	s_lshr_b32 s61, s82, 24                                    // 000000008CA0: 8F3D9852
	s_and_b32 s82, s82, 0xffffff                               // 000000008CA4: 8652FF52 00FFFFFF
	s_mul_i32 s82, s82, s71                                    // 000000008CAC: 92524752
	s_mul_i32 s61, s60, s61                                    // 000000008CB0: 923D3D3C
	s_add_u32 s82, s82, s61                                    // 000000008CB4: 80523D52
	v_mul_lo_u32 v7, v4, s82                                   // 000000008CB8: D2850007 0000A504
	v_add_u32_e32 v71, v6, v7                                  // 000000008CC0: 688E0F06
	v_readlane_b32 s82, v3, 20                                 // 000000008CC4: D2890052 00012903
	s_lshr_b32 s61, s82, 24                                    // 000000008CCC: 8F3D9852
	s_and_b32 s82, s82, 0xffffff                               // 000000008CD0: 8652FF52 00FFFFFF
	s_mul_i32 s82, s82, s71                                    // 000000008CD8: 92524752
	s_mul_i32 s61, s60, s61                                    // 000000008CDC: 923D3D3C
	s_add_u32 s82, s82, s61                                    // 000000008CE0: 80523D52
	v_mul_lo_u32 v6, v5, s82                                   // 000000008CE4: D2850006 0000A505
	v_readlane_b32 s82, v3, 21                                 // 000000008CEC: D2890052 00012B03
	s_lshr_b32 s61, s82, 24                                    // 000000008CF4: 8F3D9852
	s_and_b32 s82, s82, 0xffffff                               // 000000008CF8: 8652FF52 00FFFFFF
	s_mul_i32 s82, s82, s71                                    // 000000008D00: 92524752
	s_mul_i32 s61, s60, s61                                    // 000000008D04: 923D3D3C
	s_add_u32 s82, s82, s61                                    // 000000008D08: 80523D52
	v_mul_lo_u32 v7, v4, s82                                   // 000000008D0C: D2850007 0000A504
	v_add_u32_e32 v72, v6, v7                                  // 000000008D14: 68900F06
	v_readlane_b32 s82, v3, 22                                 // 000000008D18: D2890052 00012D03
	s_lshr_b32 s61, s82, 24                                    // 000000008D20: 8F3D9852
	s_and_b32 s82, s82, 0xffffff                               // 000000008D24: 8652FF52 00FFFFFF
	s_mul_i32 s82, s82, s71                                    // 000000008D2C: 92524752
	s_mul_i32 s61, s60, s61                                    // 000000008D30: 923D3D3C
	s_add_u32 s82, s82, s61                                    // 000000008D34: 80523D52
	v_mul_lo_u32 v6, v5, s82                                   // 000000008D38: D2850006 0000A505
	v_readlane_b32 s82, v3, 23                                 // 000000008D40: D2890052 00012F03
	s_lshr_b32 s61, s82, 24                                    // 000000008D48: 8F3D9852
	s_and_b32 s82, s82, 0xffffff                               // 000000008D4C: 8652FF52 00FFFFFF
	s_mul_i32 s82, s82, s71                                    // 000000008D54: 92524752
	s_mul_i32 s61, s60, s61                                    // 000000008D58: 923D3D3C
	s_add_u32 s82, s82, s61                                    // 000000008D5C: 80523D52
	v_mul_lo_u32 v7, v4, s82                                   // 000000008D60: D2850007 0000A504
	v_add_u32_e32 v73, v6, v7                                  // 000000008D68: 68920F06
	v_readlane_b32 s82, v3, 24                                 // 000000008D6C: D2890052 00013103
	s_lshr_b32 s61, s82, 24                                    // 000000008D74: 8F3D9852
	s_and_b32 s82, s82, 0xffffff                               // 000000008D78: 8652FF52 00FFFFFF
	s_mul_i32 s82, s82, s71                                    // 000000008D80: 92524752
	s_mul_i32 s61, s60, s61                                    // 000000008D84: 923D3D3C
	s_add_u32 s82, s82, s61                                    // 000000008D88: 80523D52
	v_mul_lo_u32 v6, v5, s82                                   // 000000008D8C: D2850006 0000A505
	v_readlane_b32 s82, v3, 25                                 // 000000008D94: D2890052 00013303
	s_lshr_b32 s61, s82, 24                                    // 000000008D9C: 8F3D9852
	s_and_b32 s82, s82, 0xffffff                               // 000000008DA0: 8652FF52 00FFFFFF
	s_mul_i32 s82, s82, s71                                    // 000000008DA8: 92524752
	s_mul_i32 s61, s60, s61                                    // 000000008DAC: 923D3D3C
	s_add_u32 s82, s82, s61                                    // 000000008DB0: 80523D52
	v_mul_lo_u32 v7, v4, s82                                   // 000000008DB4: D2850007 0000A504
	v_add_u32_e32 v74, v6, v7                                  // 000000008DBC: 68940F06
	v_readlane_b32 s82, v3, 26                                 // 000000008DC0: D2890052 00013503
	s_lshr_b32 s61, s82, 24                                    // 000000008DC8: 8F3D9852
	s_and_b32 s82, s82, 0xffffff                               // 000000008DCC: 8652FF52 00FFFFFF
	s_mul_i32 s82, s82, s71                                    // 000000008DD4: 92524752
	s_mul_i32 s61, s60, s61                                    // 000000008DD8: 923D3D3C
	s_add_u32 s82, s82, s61                                    // 000000008DDC: 80523D52
	v_mul_lo_u32 v6, v5, s82                                   // 000000008DE0: D2850006 0000A505
	v_readlane_b32 s82, v3, 27                                 // 000000008DE8: D2890052 00013703
	s_lshr_b32 s61, s82, 24                                    // 000000008DF0: 8F3D9852
	s_and_b32 s82, s82, 0xffffff                               // 000000008DF4: 8652FF52 00FFFFFF
	s_mul_i32 s82, s82, s71                                    // 000000008DFC: 92524752
	s_mul_i32 s61, s60, s61                                    // 000000008E00: 923D3D3C
	s_add_u32 s82, s82, s61                                    // 000000008E04: 80523D52
	v_mul_lo_u32 v7, v4, s82                                   // 000000008E08: D2850007 0000A504
	v_add_u32_e32 v75, v6, v7                                  // 000000008E10: 68960F06
	v_readlane_b32 s82, v3, 28                                 // 000000008E14: D2890052 00013903
	s_lshr_b32 s61, s82, 24                                    // 000000008E1C: 8F3D9852
	s_and_b32 s82, s82, 0xffffff                               // 000000008E20: 8652FF52 00FFFFFF
	s_mul_i32 s82, s82, s71                                    // 000000008E28: 92524752
	s_mul_i32 s61, s60, s61                                    // 000000008E2C: 923D3D3C
	s_add_u32 s82, s82, s61                                    // 000000008E30: 80523D52
	v_mul_lo_u32 v6, v5, s82                                   // 000000008E34: D2850006 0000A505
	v_readlane_b32 s82, v3, 29                                 // 000000008E3C: D2890052 00013B03
	s_lshr_b32 s61, s82, 24                                    // 000000008E44: 8F3D9852
	s_and_b32 s82, s82, 0xffffff                               // 000000008E48: 8652FF52 00FFFFFF
	s_mul_i32 s82, s82, s71                                    // 000000008E50: 92524752
	s_mul_i32 s61, s60, s61                                    // 000000008E54: 923D3D3C
	s_add_u32 s82, s82, s61                                    // 000000008E58: 80523D52
	v_mul_lo_u32 v7, v4, s82                                   // 000000008E5C: D2850007 0000A504
	v_add_u32_e32 v76, v6, v7                                  // 000000008E64: 68980F06
	v_readlane_b32 s82, v3, 30                                 // 000000008E68: D2890052 00013D03
	s_lshr_b32 s61, s82, 24                                    // 000000008E70: 8F3D9852
	s_and_b32 s82, s82, 0xffffff                               // 000000008E74: 8652FF52 00FFFFFF
	s_mul_i32 s82, s82, s71                                    // 000000008E7C: 92524752
	s_mul_i32 s61, s60, s61                                    // 000000008E80: 923D3D3C
	s_add_u32 s82, s82, s61                                    // 000000008E84: 80523D52
	v_mul_lo_u32 v6, v5, s82                                   // 000000008E88: D2850006 0000A505
	v_readlane_b32 s82, v3, 31                                 // 000000008E90: D2890052 00013F03
	s_lshr_b32 s61, s82, 24                                    // 000000008E98: 8F3D9852
	s_and_b32 s82, s82, 0xffffff                               // 000000008E9C: 8652FF52 00FFFFFF
	s_mul_i32 s82, s82, s71                                    // 000000008EA4: 92524752
	s_mul_i32 s61, s60, s61                                    // 000000008EA8: 923D3D3C
	s_add_u32 s82, s82, s61                                    // 000000008EAC: 80523D52
	v_mul_lo_u32 v7, v4, s82                                   // 000000008EB0: D2850007 0000A504
	v_add_u32_e32 v77, v6, v7                                  // 000000008EB8: 689A0F06
	v_and_b32_e32 v4, 31, v0                                   // 000000008EBC: 2608009F
	v_lshrrev_b32_e32 v4, 1, v4                                // 000000008EC0: 20080881
	s_cmp_eq_u32 s88, 0                                        // 000000008EC4: BF068058
	s_cselect_b32 s61, 2, 4                                    // 000000008EC8: 853D8482
	v_mul_lo_u32 v4, v4, s61                                   // 000000008ECC: D2850004 00007B04
	v_and_b32_e64 v5, v0, 1                                    // 000000008ED4: D1130005 00010300
	v_add_u32_e32 v4, v4, v5                                   // 000000008EDC: 68080B04
	v_lshlrev_b32_e32 v4, 2, v4                                // 000000008EE0: 24080882
	v_add_u32_e32 v62, v62, v4                                 // 000000008EE4: 687C093E
	v_add_u32_e32 v63, v63, v4                                 // 000000008EE8: 687E093F
	v_add_u32_e32 v64, v64, v4                                 // 000000008EEC: 68800940
	v_add_u32_e32 v65, v65, v4                                 // 000000008EF0: 68820941
	v_add_u32_e32 v66, v66, v4                                 // 000000008EF4: 68840942
	v_add_u32_e32 v67, v67, v4                                 // 000000008EF8: 68860943
	v_add_u32_e32 v68, v68, v4                                 // 000000008EFC: 68880944
	v_add_u32_e32 v69, v69, v4                                 // 000000008F00: 688A0945
	v_add_u32_e32 v70, v70, v4                                 // 000000008F04: 688C0946
	v_add_u32_e32 v71, v71, v4                                 // 000000008F08: 688E0947
	v_add_u32_e32 v72, v72, v4                                 // 000000008F0C: 68900948
	v_add_u32_e32 v73, v73, v4                                 // 000000008F10: 68920949
	v_add_u32_e32 v74, v74, v4                                 // 000000008F14: 6894094A
	v_add_u32_e32 v75, v75, v4                                 // 000000008F18: 6896094B
	v_add_u32_e32 v76, v76, v4                                 // 000000008F1C: 6898094C
	v_add_u32_e32 v77, v77, v4                                 // 000000008F20: 689A094D
	s_waitcnt lgkmcnt(0)                                       // 000000008F24: BF8CC07F
	s_barrier                                                  // 000000008F28: BF8A0000
	ds_read_b32 v80, v21                                       // 000000008F2C: D86C0000 50000015
	ds_read_b32 v81, v21 offset:64                             // 000000008F34: D86C0040 51000015
	ds_read_b32 v84, v21 offset:2176                           // 000000008F3C: D86C0880 54000015
	ds_read_b32 v85, v21 offset:2240                           // 000000008F44: D86C08C0 55000015
	ds_read_b32 v88, v21 offset:4352                           // 000000008F4C: D86C1100 58000015
	ds_read_b32 v89, v21 offset:4416                           // 000000008F54: D86C1140 59000015
	ds_read_b32 v92, v21 offset:6528                           // 000000008F5C: D86C1980 5C000015
	ds_read_b32 v93, v21 offset:6592                           // 000000008F64: D86C19C0 5D000015
	ds_read_b32 v96, v21 offset:8704                           // 000000008F6C: D86C2200 60000015
	ds_read_b32 v97, v21 offset:8768                           // 000000008F74: D86C2240 61000015
	ds_read_b32 v100, v21 offset:10880                         // 000000008F7C: D86C2A80 64000015
	ds_read_b32 v101, v21 offset:10944                         // 000000008F84: D86C2AC0 65000015
	ds_read_b32 v104, v21 offset:13056                         // 000000008F8C: D86C3300 68000015
	ds_read_b32 v105, v21 offset:13120                         // 000000008F94: D86C3340 69000015
	ds_read_b32 v108, v21 offset:15232                         // 000000008F9C: D86C3B80 6C000015
	ds_read_b32 v109, v21 offset:15296                         // 000000008FA4: D86C3BC0 6D000015
	ds_read_b32 v112, v21 offset:17408                         // 000000008FAC: D86C4400 70000015
	ds_read_b32 v113, v21 offset:17472                         // 000000008FB4: D86C4440 71000015
	ds_read_b32 v116, v21 offset:19584                         // 000000008FBC: D86C4C80 74000015
	ds_read_b32 v117, v21 offset:19648                         // 000000008FC4: D86C4CC0 75000015
	ds_read_b32 v120, v21 offset:21760                         // 000000008FCC: D86C5500 78000015
	ds_read_b32 v121, v21 offset:21824                         // 000000008FD4: D86C5540 79000015
	ds_read_b32 v124, v21 offset:23936                         // 000000008FDC: D86C5D80 7C000015
	ds_read_b32 v125, v21 offset:24000                         // 000000008FE4: D86C5DC0 7D000015
	ds_read_b32 v128, v21 offset:26112                         // 000000008FEC: D86C6600 80000015
	ds_read_b32 v129, v21 offset:26176                         // 000000008FF4: D86C6640 81000015
	ds_read_b32 v132, v21 offset:28288                         // 000000008FFC: D86C6E80 84000015
	ds_read_b32 v133, v21 offset:28352                         // 000000009004: D86C6EC0 85000015
	ds_read_b32 v136, v21 offset:30464                         // 00000000900C: D86C7700 88000015
	ds_read_b32 v137, v21 offset:30528                         // 000000009014: D86C7740 89000015
	ds_read_b32 v140, v21 offset:32640                         // 00000000901C: D86C7F80 8C000015
	ds_read_b32 v141, v21 offset:32704                         // 000000009024: D86C7FC0 8D000015
	s_waitcnt lgkmcnt(0)                                       // 00000000902C: BF8CC07F
	s_mov_b32 s36, -1                                          // 000000009030: BEA400C1
	s_mov_b32 s37, -1                                          // 000000009034: BEA500C1
	v_mov_b32_e32 v7, 0                                        // 000000009038: 7E0E0280
	s_mov_b64 exec, s[36:37]                                   // 00000000903C: BEFE0124
	v_mov_b32_e32 v6, v62                                      // 000000009040: 7E0C033E
	s_mov_b64 s[60:61], 0                                      // 000000009044: BEBC0180
	v_readlane_b32 s82, v3, 0                                  // 000000009048: D2890052 00010103
	s_and_b32 s82, s82, 0xffffff                               // 000000009050: 8652FF52 00FFFFFF
	s_cmp_lt_u32 s82, s66                                      // 000000009058: BF0A4252
	s_cselect_b32 s20, s36, s60                                // 00000000905C: 85143C24
	v_readlane_b32 s82, v3, 1                                  // 000000009060: D2890052 00010303
	s_and_b32 s82, s82, 0xffffff                               // 000000009068: 8652FF52 00FFFFFF
	s_cmp_lt_u32 s82, s66                                      // 000000009070: BF0A4252
	s_cselect_b32 s21, s36, s60                                // 000000009074: 85153C24
	s_mov_b64 exec, s[20:21]                                   // 000000009078: BEFE0114
	global_atomic_add_f32 v6, v80, s[8:9]                      // 00000000907C: DD348000 00085006
	global_atomic_add_f32 v6, v84, s[8:9] offset:256           // 000000009084: DD348100 00085406
	s_mov_b64 exec, s[36:37]                                   // 00000000908C: BEFE0124
	v_mov_b32_e32 v6, v63                                      // 000000009090: 7E0C033F
	s_mov_b64 s[60:61], 0                                      // 000000009094: BEBC0180
	v_readlane_b32 s82, v3, 2                                  // 000000009098: D2890052 00010503
	s_and_b32 s82, s82, 0xffffff                               // 0000000090A0: 8652FF52 00FFFFFF
	s_cmp_lt_u32 s82, s66                                      // 0000000090A8: BF0A4252
	s_cselect_b32 s20, s36, s60                                // 0000000090AC: 85143C24
	v_readlane_b32 s82, v3, 3                                  // 0000000090B0: D2890052 00010703
	s_and_b32 s82, s82, 0xffffff                               // 0000000090B8: 8652FF52 00FFFFFF
	s_cmp_lt_u32 s82, s66                                      // 0000000090C0: BF0A4252
	s_cselect_b32 s21, s36, s60                                // 0000000090C4: 85153C24
	s_mov_b64 exec, s[20:21]                                   // 0000000090C8: BEFE0114
	global_atomic_add_f32 v6, v81, s[8:9]                      // 0000000090CC: DD348000 00085106
	global_atomic_add_f32 v6, v85, s[8:9] offset:256           // 0000000090D4: DD348100 00085506
	s_mov_b64 exec, s[36:37]                                   // 0000000090DC: BEFE0124
	v_mov_b32_e32 v6, v64                                      // 0000000090E0: 7E0C0340
	s_mov_b64 s[60:61], 0                                      // 0000000090E4: BEBC0180
	v_readlane_b32 s82, v3, 4                                  // 0000000090E8: D2890052 00010903
	s_and_b32 s82, s82, 0xffffff                               // 0000000090F0: 8652FF52 00FFFFFF
	s_cmp_lt_u32 s82, s66                                      // 0000000090F8: BF0A4252
	s_cselect_b32 s20, s36, s60                                // 0000000090FC: 85143C24
	v_readlane_b32 s82, v3, 5                                  // 000000009100: D2890052 00010B03
	s_and_b32 s82, s82, 0xffffff                               // 000000009108: 8652FF52 00FFFFFF
	s_cmp_lt_u32 s82, s66                                      // 000000009110: BF0A4252
	s_cselect_b32 s21, s36, s60                                // 000000009114: 85153C24
	s_mov_b64 exec, s[20:21]                                   // 000000009118: BEFE0114
	global_atomic_add_f32 v6, v88, s[8:9]                      // 00000000911C: DD348000 00085806
	global_atomic_add_f32 v6, v92, s[8:9] offset:256           // 000000009124: DD348100 00085C06
	s_mov_b64 exec, s[36:37]                                   // 00000000912C: BEFE0124
	v_mov_b32_e32 v6, v65                                      // 000000009130: 7E0C0341
	s_mov_b64 s[60:61], 0                                      // 000000009134: BEBC0180
	v_readlane_b32 s82, v3, 6                                  // 000000009138: D2890052 00010D03
	s_and_b32 s82, s82, 0xffffff                               // 000000009140: 8652FF52 00FFFFFF
	s_cmp_lt_u32 s82, s66                                      // 000000009148: BF0A4252
	s_cselect_b32 s20, s36, s60                                // 00000000914C: 85143C24
	v_readlane_b32 s82, v3, 7                                  // 000000009150: D2890052 00010F03
	s_and_b32 s82, s82, 0xffffff                               // 000000009158: 8652FF52 00FFFFFF
	s_cmp_lt_u32 s82, s66                                      // 000000009160: BF0A4252
	s_cselect_b32 s21, s36, s60                                // 000000009164: 85153C24
	s_mov_b64 exec, s[20:21]                                   // 000000009168: BEFE0114
	global_atomic_add_f32 v6, v89, s[8:9]                      // 00000000916C: DD348000 00085906
	global_atomic_add_f32 v6, v93, s[8:9] offset:256           // 000000009174: DD348100 00085D06
	s_mov_b64 exec, s[36:37]                                   // 00000000917C: BEFE0124
	v_mov_b32_e32 v6, v66                                      // 000000009180: 7E0C0342
	s_mov_b64 s[60:61], 0                                      // 000000009184: BEBC0180
	v_readlane_b32 s82, v3, 8                                  // 000000009188: D2890052 00011103
	s_and_b32 s82, s82, 0xffffff                               // 000000009190: 8652FF52 00FFFFFF
	s_cmp_lt_u32 s82, s66                                      // 000000009198: BF0A4252
	s_cselect_b32 s20, s36, s60                                // 00000000919C: 85143C24
	v_readlane_b32 s82, v3, 9                                  // 0000000091A0: D2890052 00011303
	s_and_b32 s82, s82, 0xffffff                               // 0000000091A8: 8652FF52 00FFFFFF
	s_cmp_lt_u32 s82, s66                                      // 0000000091B0: BF0A4252
	s_cselect_b32 s21, s36, s60                                // 0000000091B4: 85153C24
	s_mov_b64 exec, s[20:21]                                   // 0000000091B8: BEFE0114
	global_atomic_add_f32 v6, v96, s[8:9]                      // 0000000091BC: DD348000 00086006
	global_atomic_add_f32 v6, v100, s[8:9] offset:256          // 0000000091C4: DD348100 00086406
	s_mov_b64 exec, s[36:37]                                   // 0000000091CC: BEFE0124
	v_mov_b32_e32 v6, v67                                      // 0000000091D0: 7E0C0343
	s_mov_b64 s[60:61], 0                                      // 0000000091D4: BEBC0180
	v_readlane_b32 s82, v3, 10                                 // 0000000091D8: D2890052 00011503
	s_and_b32 s82, s82, 0xffffff                               // 0000000091E0: 8652FF52 00FFFFFF
	s_cmp_lt_u32 s82, s66                                      // 0000000091E8: BF0A4252
	s_cselect_b32 s20, s36, s60                                // 0000000091EC: 85143C24
	v_readlane_b32 s82, v3, 11                                 // 0000000091F0: D2890052 00011703
	s_and_b32 s82, s82, 0xffffff                               // 0000000091F8: 8652FF52 00FFFFFF
	s_cmp_lt_u32 s82, s66                                      // 000000009200: BF0A4252
	s_cselect_b32 s21, s36, s60                                // 000000009204: 85153C24
	s_mov_b64 exec, s[20:21]                                   // 000000009208: BEFE0114
	global_atomic_add_f32 v6, v97, s[8:9]                      // 00000000920C: DD348000 00086106
	global_atomic_add_f32 v6, v101, s[8:9] offset:256          // 000000009214: DD348100 00086506
	s_mov_b64 exec, s[36:37]                                   // 00000000921C: BEFE0124
	v_mov_b32_e32 v6, v68                                      // 000000009220: 7E0C0344
	s_mov_b64 s[60:61], 0                                      // 000000009224: BEBC0180
	v_readlane_b32 s82, v3, 12                                 // 000000009228: D2890052 00011903
	s_and_b32 s82, s82, 0xffffff                               // 000000009230: 8652FF52 00FFFFFF
	s_cmp_lt_u32 s82, s66                                      // 000000009238: BF0A4252
	s_cselect_b32 s20, s36, s60                                // 00000000923C: 85143C24
	v_readlane_b32 s82, v3, 13                                 // 000000009240: D2890052 00011B03
	s_and_b32 s82, s82, 0xffffff                               // 000000009248: 8652FF52 00FFFFFF
	s_cmp_lt_u32 s82, s66                                      // 000000009250: BF0A4252
	s_cselect_b32 s21, s36, s60                                // 000000009254: 85153C24
	s_mov_b64 exec, s[20:21]                                   // 000000009258: BEFE0114
	global_atomic_add_f32 v6, v104, s[8:9]                     // 00000000925C: DD348000 00086806
	global_atomic_add_f32 v6, v108, s[8:9] offset:256          // 000000009264: DD348100 00086C06
	s_mov_b64 exec, s[36:37]                                   // 00000000926C: BEFE0124
	v_mov_b32_e32 v6, v69                                      // 000000009270: 7E0C0345
	s_mov_b64 s[60:61], 0                                      // 000000009274: BEBC0180
	v_readlane_b32 s82, v3, 14                                 // 000000009278: D2890052 00011D03
	s_and_b32 s82, s82, 0xffffff                               // 000000009280: 8652FF52 00FFFFFF
	s_cmp_lt_u32 s82, s66                                      // 000000009288: BF0A4252
	s_cselect_b32 s20, s36, s60                                // 00000000928C: 85143C24
	v_readlane_b32 s82, v3, 15                                 // 000000009290: D2890052 00011F03
	s_and_b32 s82, s82, 0xffffff                               // 000000009298: 8652FF52 00FFFFFF
	s_cmp_lt_u32 s82, s66                                      // 0000000092A0: BF0A4252
	s_cselect_b32 s21, s36, s60                                // 0000000092A4: 85153C24
	s_mov_b64 exec, s[20:21]                                   // 0000000092A8: BEFE0114
	global_atomic_add_f32 v6, v105, s[8:9]                     // 0000000092AC: DD348000 00086906
	global_atomic_add_f32 v6, v109, s[8:9] offset:256          // 0000000092B4: DD348100 00086D06
	s_mov_b64 exec, s[36:37]                                   // 0000000092BC: BEFE0124
	v_mov_b32_e32 v6, v70                                      // 0000000092C0: 7E0C0346
	s_mov_b64 s[60:61], 0                                      // 0000000092C4: BEBC0180
	v_readlane_b32 s82, v3, 16                                 // 0000000092C8: D2890052 00012103
	s_and_b32 s82, s82, 0xffffff                               // 0000000092D0: 8652FF52 00FFFFFF
	s_cmp_lt_u32 s82, s66                                      // 0000000092D8: BF0A4252
	s_cselect_b32 s20, s36, s60                                // 0000000092DC: 85143C24
	v_readlane_b32 s82, v3, 17                                 // 0000000092E0: D2890052 00012303
	s_and_b32 s82, s82, 0xffffff                               // 0000000092E8: 8652FF52 00FFFFFF
	s_cmp_lt_u32 s82, s66                                      // 0000000092F0: BF0A4252
	s_cselect_b32 s21, s36, s60                                // 0000000092F4: 85153C24
	s_mov_b64 exec, s[20:21]                                   // 0000000092F8: BEFE0114
	global_atomic_add_f32 v6, v112, s[8:9]                     // 0000000092FC: DD348000 00087006
	global_atomic_add_f32 v6, v116, s[8:9] offset:256          // 000000009304: DD348100 00087406
	s_mov_b64 exec, s[36:37]                                   // 00000000930C: BEFE0124
	v_mov_b32_e32 v6, v71                                      // 000000009310: 7E0C0347
	s_mov_b64 s[60:61], 0                                      // 000000009314: BEBC0180
	v_readlane_b32 s82, v3, 18                                 // 000000009318: D2890052 00012503
	s_and_b32 s82, s82, 0xffffff                               // 000000009320: 8652FF52 00FFFFFF
	s_cmp_lt_u32 s82, s66                                      // 000000009328: BF0A4252
	s_cselect_b32 s20, s36, s60                                // 00000000932C: 85143C24
	v_readlane_b32 s82, v3, 19                                 // 000000009330: D2890052 00012703
	s_and_b32 s82, s82, 0xffffff                               // 000000009338: 8652FF52 00FFFFFF
	s_cmp_lt_u32 s82, s66                                      // 000000009340: BF0A4252
	s_cselect_b32 s21, s36, s60                                // 000000009344: 85153C24
	s_mov_b64 exec, s[20:21]                                   // 000000009348: BEFE0114
	global_atomic_add_f32 v6, v113, s[8:9]                     // 00000000934C: DD348000 00087106
	global_atomic_add_f32 v6, v117, s[8:9] offset:256          // 000000009354: DD348100 00087506
	s_mov_b64 exec, s[36:37]                                   // 00000000935C: BEFE0124
	v_mov_b32_e32 v6, v72                                      // 000000009360: 7E0C0348
	s_mov_b64 s[60:61], 0                                      // 000000009364: BEBC0180
	v_readlane_b32 s82, v3, 20                                 // 000000009368: D2890052 00012903
	s_and_b32 s82, s82, 0xffffff                               // 000000009370: 8652FF52 00FFFFFF
	s_cmp_lt_u32 s82, s66                                      // 000000009378: BF0A4252
	s_cselect_b32 s20, s36, s60                                // 00000000937C: 85143C24
	v_readlane_b32 s82, v3, 21                                 // 000000009380: D2890052 00012B03
	s_and_b32 s82, s82, 0xffffff                               // 000000009388: 8652FF52 00FFFFFF
	s_cmp_lt_u32 s82, s66                                      // 000000009390: BF0A4252
	s_cselect_b32 s21, s36, s60                                // 000000009394: 85153C24
	s_mov_b64 exec, s[20:21]                                   // 000000009398: BEFE0114
	global_atomic_add_f32 v6, v120, s[8:9]                     // 00000000939C: DD348000 00087806
	global_atomic_add_f32 v6, v124, s[8:9] offset:256          // 0000000093A4: DD348100 00087C06
	s_mov_b64 exec, s[36:37]                                   // 0000000093AC: BEFE0124
	v_mov_b32_e32 v6, v73                                      // 0000000093B0: 7E0C0349
	s_mov_b64 s[60:61], 0                                      // 0000000093B4: BEBC0180
	v_readlane_b32 s82, v3, 22                                 // 0000000093B8: D2890052 00012D03
	s_and_b32 s82, s82, 0xffffff                               // 0000000093C0: 8652FF52 00FFFFFF
	s_cmp_lt_u32 s82, s66                                      // 0000000093C8: BF0A4252
	s_cselect_b32 s20, s36, s60                                // 0000000093CC: 85143C24
	v_readlane_b32 s82, v3, 23                                 // 0000000093D0: D2890052 00012F03
	s_and_b32 s82, s82, 0xffffff                               // 0000000093D8: 8652FF52 00FFFFFF
	s_cmp_lt_u32 s82, s66                                      // 0000000093E0: BF0A4252
	s_cselect_b32 s21, s36, s60                                // 0000000093E4: 85153C24
	s_mov_b64 exec, s[20:21]                                   // 0000000093E8: BEFE0114
	global_atomic_add_f32 v6, v121, s[8:9]                     // 0000000093EC: DD348000 00087906
	global_atomic_add_f32 v6, v125, s[8:9] offset:256          // 0000000093F4: DD348100 00087D06
	s_mov_b64 exec, s[36:37]                                   // 0000000093FC: BEFE0124
	v_mov_b32_e32 v6, v74                                      // 000000009400: 7E0C034A
	s_mov_b64 s[60:61], 0                                      // 000000009404: BEBC0180
	v_readlane_b32 s82, v3, 24                                 // 000000009408: D2890052 00013103
	s_and_b32 s82, s82, 0xffffff                               // 000000009410: 8652FF52 00FFFFFF
	s_cmp_lt_u32 s82, s66                                      // 000000009418: BF0A4252
	s_cselect_b32 s20, s36, s60                                // 00000000941C: 85143C24
	v_readlane_b32 s82, v3, 25                                 // 000000009420: D2890052 00013303
	s_and_b32 s82, s82, 0xffffff                               // 000000009428: 8652FF52 00FFFFFF
	s_cmp_lt_u32 s82, s66                                      // 000000009430: BF0A4252
	s_cselect_b32 s21, s36, s60                                // 000000009434: 85153C24
	s_mov_b64 exec, s[20:21]                                   // 000000009438: BEFE0114
	global_atomic_add_f32 v6, v128, s[8:9]                     // 00000000943C: DD348000 00088006
	global_atomic_add_f32 v6, v132, s[8:9] offset:256          // 000000009444: DD348100 00088406
	s_mov_b64 exec, s[36:37]                                   // 00000000944C: BEFE0124
	v_mov_b32_e32 v6, v75                                      // 000000009450: 7E0C034B
	s_mov_b64 s[60:61], 0                                      // 000000009454: BEBC0180
	v_readlane_b32 s82, v3, 26                                 // 000000009458: D2890052 00013503
	s_and_b32 s82, s82, 0xffffff                               // 000000009460: 8652FF52 00FFFFFF
	s_cmp_lt_u32 s82, s66                                      // 000000009468: BF0A4252
	s_cselect_b32 s20, s36, s60                                // 00000000946C: 85143C24
	v_readlane_b32 s82, v3, 27                                 // 000000009470: D2890052 00013703
	s_and_b32 s82, s82, 0xffffff                               // 000000009478: 8652FF52 00FFFFFF
	s_cmp_lt_u32 s82, s66                                      // 000000009480: BF0A4252
	s_cselect_b32 s21, s36, s60                                // 000000009484: 85153C24
	s_mov_b64 exec, s[20:21]                                   // 000000009488: BEFE0114
	global_atomic_add_f32 v6, v129, s[8:9]                     // 00000000948C: DD348000 00088106
	global_atomic_add_f32 v6, v133, s[8:9] offset:256          // 000000009494: DD348100 00088506
	s_mov_b64 exec, s[36:37]                                   // 00000000949C: BEFE0124
	v_mov_b32_e32 v6, v76                                      // 0000000094A0: 7E0C034C
	s_mov_b64 s[60:61], 0                                      // 0000000094A4: BEBC0180
	v_readlane_b32 s82, v3, 28                                 // 0000000094A8: D2890052 00013903
	s_and_b32 s82, s82, 0xffffff                               // 0000000094B0: 8652FF52 00FFFFFF
	s_cmp_lt_u32 s82, s66                                      // 0000000094B8: BF0A4252
	s_cselect_b32 s20, s36, s60                                // 0000000094BC: 85143C24
	v_readlane_b32 s82, v3, 29                                 // 0000000094C0: D2890052 00013B03
	s_and_b32 s82, s82, 0xffffff                               // 0000000094C8: 8652FF52 00FFFFFF
	s_cmp_lt_u32 s82, s66                                      // 0000000094D0: BF0A4252
	s_cselect_b32 s21, s36, s60                                // 0000000094D4: 85153C24
	s_mov_b64 exec, s[20:21]                                   // 0000000094D8: BEFE0114
	global_atomic_add_f32 v6, v136, s[8:9]                     // 0000000094DC: DD348000 00088806
	global_atomic_add_f32 v6, v140, s[8:9] offset:256          // 0000000094E4: DD348100 00088C06
	s_mov_b64 exec, s[36:37]                                   // 0000000094EC: BEFE0124
	v_mov_b32_e32 v6, v77                                      // 0000000094F0: 7E0C034D
	s_mov_b64 s[60:61], 0                                      // 0000000094F4: BEBC0180
	v_readlane_b32 s82, v3, 30                                 // 0000000094F8: D2890052 00013D03
	s_and_b32 s82, s82, 0xffffff                               // 000000009500: 8652FF52 00FFFFFF
	s_cmp_lt_u32 s82, s66                                      // 000000009508: BF0A4252
	s_cselect_b32 s20, s36, s60                                // 00000000950C: 85143C24
	v_readlane_b32 s82, v3, 31                                 // 000000009510: D2890052 00013F03
	s_and_b32 s82, s82, 0xffffff                               // 000000009518: 8652FF52 00FFFFFF
	s_cmp_lt_u32 s82, s66                                      // 000000009520: BF0A4252
	s_cselect_b32 s21, s36, s60                                // 000000009524: 85153C24
	s_mov_b64 exec, s[20:21]                                   // 000000009528: BEFE0114
	global_atomic_add_f32 v6, v137, s[8:9]                     // 00000000952C: DD348000 00088906
	global_atomic_add_f32 v6, v141, s[8:9] offset:256          // 000000009534: DD348100 00088D06
	s_mov_b64 exec, s[36:37]                                   // 00000000953C: BEFE0124
	ds_write_b64 v20, v[82:83]                                 // 000000009540: D89A0000 00005214
	ds_write_b64 v20, v[86:87] offset:4352                     // 000000009548: D89A1100 00005614
	ds_write_b64 v20, v[90:91] offset:8704                     // 000000009550: D89A2200 00005A14
	ds_write_b64 v20, v[94:95] offset:13056                    // 000000009558: D89A3300 00005E14
	ds_write_b64 v20, v[98:99] offset:17408                    // 000000009560: D89A4400 00006214
	ds_write_b64 v20, v[102:103] offset:21760                  // 000000009568: D89A5500 00006614
	ds_write_b64 v20, v[106:107] offset:26112                  // 000000009570: D89A6600 00006A14
	ds_write_b64 v20, v[110:111] offset:30464                  // 000000009578: D89A7700 00006E14
	ds_write_b64 v20, v[114:115] offset:2176                   // 000000009580: D89A0880 00007214
	ds_write_b64 v20, v[118:119] offset:6528                   // 000000009588: D89A1980 00007614
	ds_write_b64 v20, v[122:123] offset:10880                  // 000000009590: D89A2A80 00007A14
	ds_write_b64 v20, v[126:127] offset:15232                  // 000000009598: D89A3B80 00007E14
	ds_write_b64 v20, v[130:131] offset:19584                  // 0000000095A0: D89A4C80 00008214
	ds_write_b64 v20, v[134:135] offset:23936                  // 0000000095A8: D89A5D80 00008614
	ds_write_b64 v20, v[138:139] offset:28288                  // 0000000095B0: D89A6E80 00008A14
	ds_write_b64 v20, v[142:143] offset:32640                  // 0000000095B8: D89A7F80 00008E14
	s_waitcnt lgkmcnt(0)                                       // 0000000095C0: BF8CC07F
	s_barrier                                                  // 0000000095C4: BF8A0000
	ds_read_b32 v82, v21                                       // 0000000095C8: D86C0000 52000015
	ds_read_b32 v83, v21 offset:64                             // 0000000095D0: D86C0040 53000015
	ds_read_b32 v86, v21 offset:2176                           // 0000000095D8: D86C0880 56000015
	ds_read_b32 v87, v21 offset:2240                           // 0000000095E0: D86C08C0 57000015
	ds_read_b32 v90, v21 offset:4352                           // 0000000095E8: D86C1100 5A000015
	ds_read_b32 v91, v21 offset:4416                           // 0000000095F0: D86C1140 5B000015
	ds_read_b32 v94, v21 offset:6528                           // 0000000095F8: D86C1980 5E000015
	ds_read_b32 v95, v21 offset:6592                           // 000000009600: D86C19C0 5F000015
	ds_read_b32 v98, v21 offset:8704                           // 000000009608: D86C2200 62000015
	ds_read_b32 v99, v21 offset:8768                           // 000000009610: D86C2240 63000015
	ds_read_b32 v102, v21 offset:10880                         // 000000009618: D86C2A80 66000015
	ds_read_b32 v103, v21 offset:10944                         // 000000009620: D86C2AC0 67000015
	ds_read_b32 v106, v21 offset:13056                         // 000000009628: D86C3300 6A000015
	ds_read_b32 v107, v21 offset:13120                         // 000000009630: D86C3340 6B000015
	ds_read_b32 v110, v21 offset:15232                         // 000000009638: D86C3B80 6E000015
	ds_read_b32 v111, v21 offset:15296                         // 000000009640: D86C3BC0 6F000015
	ds_read_b32 v114, v21 offset:17408                         // 000000009648: D86C4400 72000015
	ds_read_b32 v115, v21 offset:17472                         // 000000009650: D86C4440 73000015
	ds_read_b32 v118, v21 offset:19584                         // 000000009658: D86C4C80 76000015
	ds_read_b32 v119, v21 offset:19648                         // 000000009660: D86C4CC0 77000015
	ds_read_b32 v122, v21 offset:21760                         // 000000009668: D86C5500 7A000015
	ds_read_b32 v123, v21 offset:21824                         // 000000009670: D86C5540 7B000015
	ds_read_b32 v126, v21 offset:23936                         // 000000009678: D86C5D80 7E000015
	ds_read_b32 v127, v21 offset:24000                         // 000000009680: D86C5DC0 7F000015
	ds_read_b32 v130, v21 offset:26112                         // 000000009688: D86C6600 82000015
	ds_read_b32 v131, v21 offset:26176                         // 000000009690: D86C6640 83000015
	ds_read_b32 v134, v21 offset:28288                         // 000000009698: D86C6E80 86000015
	ds_read_b32 v135, v21 offset:28352                         // 0000000096A0: D86C6EC0 87000015
	ds_read_b32 v138, v21 offset:30464                         // 0000000096A8: D86C7700 8A000015
	ds_read_b32 v139, v21 offset:30528                         // 0000000096B0: D86C7740 8B000015
	ds_read_b32 v142, v21 offset:32640                         // 0000000096B8: D86C7F80 8E000015
	ds_read_b32 v143, v21 offset:32704                         // 0000000096C0: D86C7FC0 8F000015
	s_waitcnt lgkmcnt(0)                                       // 0000000096C8: BF8CC07F
	v_mov_b32_e32 v7, 0                                        // 0000000096CC: 7E0E0280
	s_mov_b64 exec, s[36:37]                                   // 0000000096D0: BEFE0124
	v_mov_b32_e32 v6, v62                                      // 0000000096D4: 7E0C033E
	s_mov_b64 s[60:61], 0                                      // 0000000096D8: BEBC0180
	v_readlane_b32 s82, v3, 0                                  // 0000000096DC: D2890052 00010103
	s_and_b32 s82, s82, 0xffffff                               // 0000000096E4: 8652FF52 00FFFFFF
	s_cmp_lt_u32 s82, s66                                      // 0000000096EC: BF0A4252
	s_cselect_b32 s20, s36, s60                                // 0000000096F0: 85143C24
	v_readlane_b32 s82, v3, 1                                  // 0000000096F4: D2890052 00010303
	s_and_b32 s82, s82, 0xffffff                               // 0000000096FC: 8652FF52 00FFFFFF
	s_cmp_lt_u32 s82, s66                                      // 000000009704: BF0A4252
	s_cselect_b32 s21, s36, s60                                // 000000009708: 85153C24
	s_mov_b64 exec, s[20:21]                                   // 00000000970C: BEFE0114
	global_atomic_add_f32 v6, v82, s[8:9] offset:8             // 000000009710: DD348008 00085206
	global_atomic_add_f32 v6, v86, s[8:9] offset:264           // 000000009718: DD348108 00085606
	s_mov_b64 exec, s[36:37]                                   // 000000009720: BEFE0124
	v_mov_b32_e32 v6, v63                                      // 000000009724: 7E0C033F
	s_mov_b64 s[60:61], 0                                      // 000000009728: BEBC0180
	v_readlane_b32 s82, v3, 2                                  // 00000000972C: D2890052 00010503
	s_and_b32 s82, s82, 0xffffff                               // 000000009734: 8652FF52 00FFFFFF
	s_cmp_lt_u32 s82, s66                                      // 00000000973C: BF0A4252
	s_cselect_b32 s20, s36, s60                                // 000000009740: 85143C24
	v_readlane_b32 s82, v3, 3                                  // 000000009744: D2890052 00010703
	s_and_b32 s82, s82, 0xffffff                               // 00000000974C: 8652FF52 00FFFFFF
	s_cmp_lt_u32 s82, s66                                      // 000000009754: BF0A4252
	s_cselect_b32 s21, s36, s60                                // 000000009758: 85153C24
	s_mov_b64 exec, s[20:21]                                   // 00000000975C: BEFE0114
	global_atomic_add_f32 v6, v83, s[8:9] offset:8             // 000000009760: DD348008 00085306
	global_atomic_add_f32 v6, v87, s[8:9] offset:264           // 000000009768: DD348108 00085706
	s_mov_b64 exec, s[36:37]                                   // 000000009770: BEFE0124
	v_mov_b32_e32 v6, v64                                      // 000000009774: 7E0C0340
	s_mov_b64 s[60:61], 0                                      // 000000009778: BEBC0180
	v_readlane_b32 s82, v3, 4                                  // 00000000977C: D2890052 00010903
	s_and_b32 s82, s82, 0xffffff                               // 000000009784: 8652FF52 00FFFFFF
	s_cmp_lt_u32 s82, s66                                      // 00000000978C: BF0A4252
	s_cselect_b32 s20, s36, s60                                // 000000009790: 85143C24
	v_readlane_b32 s82, v3, 5                                  // 000000009794: D2890052 00010B03
	s_and_b32 s82, s82, 0xffffff                               // 00000000979C: 8652FF52 00FFFFFF
	s_cmp_lt_u32 s82, s66                                      // 0000000097A4: BF0A4252
	s_cselect_b32 s21, s36, s60                                // 0000000097A8: 85153C24
	s_mov_b64 exec, s[20:21]                                   // 0000000097AC: BEFE0114
	global_atomic_add_f32 v6, v90, s[8:9] offset:8             // 0000000097B0: DD348008 00085A06
	global_atomic_add_f32 v6, v94, s[8:9] offset:264           // 0000000097B8: DD348108 00085E06
	s_mov_b64 exec, s[36:37]                                   // 0000000097C0: BEFE0124
	v_mov_b32_e32 v6, v65                                      // 0000000097C4: 7E0C0341
	s_mov_b64 s[60:61], 0                                      // 0000000097C8: BEBC0180
	v_readlane_b32 s82, v3, 6                                  // 0000000097CC: D2890052 00010D03
	s_and_b32 s82, s82, 0xffffff                               // 0000000097D4: 8652FF52 00FFFFFF
	s_cmp_lt_u32 s82, s66                                      // 0000000097DC: BF0A4252
	s_cselect_b32 s20, s36, s60                                // 0000000097E0: 85143C24
	v_readlane_b32 s82, v3, 7                                  // 0000000097E4: D2890052 00010F03
	s_and_b32 s82, s82, 0xffffff                               // 0000000097EC: 8652FF52 00FFFFFF
	s_cmp_lt_u32 s82, s66                                      // 0000000097F4: BF0A4252
	s_cselect_b32 s21, s36, s60                                // 0000000097F8: 85153C24
	s_mov_b64 exec, s[20:21]                                   // 0000000097FC: BEFE0114
	global_atomic_add_f32 v6, v91, s[8:9] offset:8             // 000000009800: DD348008 00085B06
	global_atomic_add_f32 v6, v95, s[8:9] offset:264           // 000000009808: DD348108 00085F06
	s_mov_b64 exec, s[36:37]                                   // 000000009810: BEFE0124
	v_mov_b32_e32 v6, v66                                      // 000000009814: 7E0C0342
	s_mov_b64 s[60:61], 0                                      // 000000009818: BEBC0180
	v_readlane_b32 s82, v3, 8                                  // 00000000981C: D2890052 00011103
	s_and_b32 s82, s82, 0xffffff                               // 000000009824: 8652FF52 00FFFFFF
	s_cmp_lt_u32 s82, s66                                      // 00000000982C: BF0A4252
	s_cselect_b32 s20, s36, s60                                // 000000009830: 85143C24
	v_readlane_b32 s82, v3, 9                                  // 000000009834: D2890052 00011303
	s_and_b32 s82, s82, 0xffffff                               // 00000000983C: 8652FF52 00FFFFFF
	s_cmp_lt_u32 s82, s66                                      // 000000009844: BF0A4252
	s_cselect_b32 s21, s36, s60                                // 000000009848: 85153C24
	s_mov_b64 exec, s[20:21]                                   // 00000000984C: BEFE0114
	global_atomic_add_f32 v6, v98, s[8:9] offset:8             // 000000009850: DD348008 00086206
	global_atomic_add_f32 v6, v102, s[8:9] offset:264          // 000000009858: DD348108 00086606
	s_mov_b64 exec, s[36:37]                                   // 000000009860: BEFE0124
	v_mov_b32_e32 v6, v67                                      // 000000009864: 7E0C0343
	s_mov_b64 s[60:61], 0                                      // 000000009868: BEBC0180
	v_readlane_b32 s82, v3, 10                                 // 00000000986C: D2890052 00011503
	s_and_b32 s82, s82, 0xffffff                               // 000000009874: 8652FF52 00FFFFFF
	s_cmp_lt_u32 s82, s66                                      // 00000000987C: BF0A4252
	s_cselect_b32 s20, s36, s60                                // 000000009880: 85143C24
	v_readlane_b32 s82, v3, 11                                 // 000000009884: D2890052 00011703
	s_and_b32 s82, s82, 0xffffff                               // 00000000988C: 8652FF52 00FFFFFF
	s_cmp_lt_u32 s82, s66                                      // 000000009894: BF0A4252
	s_cselect_b32 s21, s36, s60                                // 000000009898: 85153C24
	s_mov_b64 exec, s[20:21]                                   // 00000000989C: BEFE0114
	global_atomic_add_f32 v6, v99, s[8:9] offset:8             // 0000000098A0: DD348008 00086306
	global_atomic_add_f32 v6, v103, s[8:9] offset:264          // 0000000098A8: DD348108 00086706
	s_mov_b64 exec, s[36:37]                                   // 0000000098B0: BEFE0124
	v_mov_b32_e32 v6, v68                                      // 0000000098B4: 7E0C0344
	s_mov_b64 s[60:61], 0                                      // 0000000098B8: BEBC0180
	v_readlane_b32 s82, v3, 12                                 // 0000000098BC: D2890052 00011903
	s_and_b32 s82, s82, 0xffffff                               // 0000000098C4: 8652FF52 00FFFFFF
	s_cmp_lt_u32 s82, s66                                      // 0000000098CC: BF0A4252
	s_cselect_b32 s20, s36, s60                                // 0000000098D0: 85143C24
	v_readlane_b32 s82, v3, 13                                 // 0000000098D4: D2890052 00011B03
	s_and_b32 s82, s82, 0xffffff                               // 0000000098DC: 8652FF52 00FFFFFF
	s_cmp_lt_u32 s82, s66                                      // 0000000098E4: BF0A4252
	s_cselect_b32 s21, s36, s60                                // 0000000098E8: 85153C24
	s_mov_b64 exec, s[20:21]                                   // 0000000098EC: BEFE0114
	global_atomic_add_f32 v6, v106, s[8:9] offset:8            // 0000000098F0: DD348008 00086A06
	global_atomic_add_f32 v6, v110, s[8:9] offset:264          // 0000000098F8: DD348108 00086E06
	s_mov_b64 exec, s[36:37]                                   // 000000009900: BEFE0124
	v_mov_b32_e32 v6, v69                                      // 000000009904: 7E0C0345
	s_mov_b64 s[60:61], 0                                      // 000000009908: BEBC0180
	v_readlane_b32 s82, v3, 14                                 // 00000000990C: D2890052 00011D03
	s_and_b32 s82, s82, 0xffffff                               // 000000009914: 8652FF52 00FFFFFF
	s_cmp_lt_u32 s82, s66                                      // 00000000991C: BF0A4252
	s_cselect_b32 s20, s36, s60                                // 000000009920: 85143C24
	v_readlane_b32 s82, v3, 15                                 // 000000009924: D2890052 00011F03
	s_and_b32 s82, s82, 0xffffff                               // 00000000992C: 8652FF52 00FFFFFF
	s_cmp_lt_u32 s82, s66                                      // 000000009934: BF0A4252
	s_cselect_b32 s21, s36, s60                                // 000000009938: 85153C24
	s_mov_b64 exec, s[20:21]                                   // 00000000993C: BEFE0114
	global_atomic_add_f32 v6, v107, s[8:9] offset:8            // 000000009940: DD348008 00086B06
	global_atomic_add_f32 v6, v111, s[8:9] offset:264          // 000000009948: DD348108 00086F06
	s_mov_b64 exec, s[36:37]                                   // 000000009950: BEFE0124
	v_mov_b32_e32 v6, v70                                      // 000000009954: 7E0C0346
	s_mov_b64 s[60:61], 0                                      // 000000009958: BEBC0180
	v_readlane_b32 s82, v3, 16                                 // 00000000995C: D2890052 00012103
	s_and_b32 s82, s82, 0xffffff                               // 000000009964: 8652FF52 00FFFFFF
	s_cmp_lt_u32 s82, s66                                      // 00000000996C: BF0A4252
	s_cselect_b32 s20, s36, s60                                // 000000009970: 85143C24
	v_readlane_b32 s82, v3, 17                                 // 000000009974: D2890052 00012303
	s_and_b32 s82, s82, 0xffffff                               // 00000000997C: 8652FF52 00FFFFFF
	s_cmp_lt_u32 s82, s66                                      // 000000009984: BF0A4252
	s_cselect_b32 s21, s36, s60                                // 000000009988: 85153C24
	s_mov_b64 exec, s[20:21]                                   // 00000000998C: BEFE0114
	global_atomic_add_f32 v6, v114, s[8:9] offset:8            // 000000009990: DD348008 00087206
	global_atomic_add_f32 v6, v118, s[8:9] offset:264          // 000000009998: DD348108 00087606
	s_mov_b64 exec, s[36:37]                                   // 0000000099A0: BEFE0124
	v_mov_b32_e32 v6, v71                                      // 0000000099A4: 7E0C0347
	s_mov_b64 s[60:61], 0                                      // 0000000099A8: BEBC0180
	v_readlane_b32 s82, v3, 18                                 // 0000000099AC: D2890052 00012503
	s_and_b32 s82, s82, 0xffffff                               // 0000000099B4: 8652FF52 00FFFFFF
	s_cmp_lt_u32 s82, s66                                      // 0000000099BC: BF0A4252
	s_cselect_b32 s20, s36, s60                                // 0000000099C0: 85143C24
	v_readlane_b32 s82, v3, 19                                 // 0000000099C4: D2890052 00012703
	s_and_b32 s82, s82, 0xffffff                               // 0000000099CC: 8652FF52 00FFFFFF
	s_cmp_lt_u32 s82, s66                                      // 0000000099D4: BF0A4252
	s_cselect_b32 s21, s36, s60                                // 0000000099D8: 85153C24
	s_mov_b64 exec, s[20:21]                                   // 0000000099DC: BEFE0114
	global_atomic_add_f32 v6, v115, s[8:9] offset:8            // 0000000099E0: DD348008 00087306
	global_atomic_add_f32 v6, v119, s[8:9] offset:264          // 0000000099E8: DD348108 00087706
	s_mov_b64 exec, s[36:37]                                   // 0000000099F0: BEFE0124
	v_mov_b32_e32 v6, v72                                      // 0000000099F4: 7E0C0348
	s_mov_b64 s[60:61], 0                                      // 0000000099F8: BEBC0180
	v_readlane_b32 s82, v3, 20                                 // 0000000099FC: D2890052 00012903
	s_and_b32 s82, s82, 0xffffff                               // 000000009A04: 8652FF52 00FFFFFF
	s_cmp_lt_u32 s82, s66                                      // 000000009A0C: BF0A4252
	s_cselect_b32 s20, s36, s60                                // 000000009A10: 85143C24
	v_readlane_b32 s82, v3, 21                                 // 000000009A14: D2890052 00012B03
	s_and_b32 s82, s82, 0xffffff                               // 000000009A1C: 8652FF52 00FFFFFF
	s_cmp_lt_u32 s82, s66                                      // 000000009A24: BF0A4252
	s_cselect_b32 s21, s36, s60                                // 000000009A28: 85153C24
	s_mov_b64 exec, s[20:21]                                   // 000000009A2C: BEFE0114
	global_atomic_add_f32 v6, v122, s[8:9] offset:8            // 000000009A30: DD348008 00087A06
	global_atomic_add_f32 v6, v126, s[8:9] offset:264          // 000000009A38: DD348108 00087E06
	s_mov_b64 exec, s[36:37]                                   // 000000009A40: BEFE0124
	v_mov_b32_e32 v6, v73                                      // 000000009A44: 7E0C0349
	s_mov_b64 s[60:61], 0                                      // 000000009A48: BEBC0180
	v_readlane_b32 s82, v3, 22                                 // 000000009A4C: D2890052 00012D03
	s_and_b32 s82, s82, 0xffffff                               // 000000009A54: 8652FF52 00FFFFFF
	s_cmp_lt_u32 s82, s66                                      // 000000009A5C: BF0A4252
	s_cselect_b32 s20, s36, s60                                // 000000009A60: 85143C24
	v_readlane_b32 s82, v3, 23                                 // 000000009A64: D2890052 00012F03
	s_and_b32 s82, s82, 0xffffff                               // 000000009A6C: 8652FF52 00FFFFFF
	s_cmp_lt_u32 s82, s66                                      // 000000009A74: BF0A4252
	s_cselect_b32 s21, s36, s60                                // 000000009A78: 85153C24
	s_mov_b64 exec, s[20:21]                                   // 000000009A7C: BEFE0114
	global_atomic_add_f32 v6, v123, s[8:9] offset:8            // 000000009A80: DD348008 00087B06
	global_atomic_add_f32 v6, v127, s[8:9] offset:264          // 000000009A88: DD348108 00087F06
	s_mov_b64 exec, s[36:37]                                   // 000000009A90: BEFE0124
	v_mov_b32_e32 v6, v74                                      // 000000009A94: 7E0C034A
	s_mov_b64 s[60:61], 0                                      // 000000009A98: BEBC0180
	v_readlane_b32 s82, v3, 24                                 // 000000009A9C: D2890052 00013103
	s_and_b32 s82, s82, 0xffffff                               // 000000009AA4: 8652FF52 00FFFFFF
	s_cmp_lt_u32 s82, s66                                      // 000000009AAC: BF0A4252
	s_cselect_b32 s20, s36, s60                                // 000000009AB0: 85143C24
	v_readlane_b32 s82, v3, 25                                 // 000000009AB4: D2890052 00013303
	s_and_b32 s82, s82, 0xffffff                               // 000000009ABC: 8652FF52 00FFFFFF
	s_cmp_lt_u32 s82, s66                                      // 000000009AC4: BF0A4252
	s_cselect_b32 s21, s36, s60                                // 000000009AC8: 85153C24
	s_mov_b64 exec, s[20:21]                                   // 000000009ACC: BEFE0114
	global_atomic_add_f32 v6, v130, s[8:9] offset:8            // 000000009AD0: DD348008 00088206
	global_atomic_add_f32 v6, v134, s[8:9] offset:264          // 000000009AD8: DD348108 00088606
	s_mov_b64 exec, s[36:37]                                   // 000000009AE0: BEFE0124
	v_mov_b32_e32 v6, v75                                      // 000000009AE4: 7E0C034B
	s_mov_b64 s[60:61], 0                                      // 000000009AE8: BEBC0180
	v_readlane_b32 s82, v3, 26                                 // 000000009AEC: D2890052 00013503
	s_and_b32 s82, s82, 0xffffff                               // 000000009AF4: 8652FF52 00FFFFFF
	s_cmp_lt_u32 s82, s66                                      // 000000009AFC: BF0A4252
	s_cselect_b32 s20, s36, s60                                // 000000009B00: 85143C24
	v_readlane_b32 s82, v3, 27                                 // 000000009B04: D2890052 00013703
	s_and_b32 s82, s82, 0xffffff                               // 000000009B0C: 8652FF52 00FFFFFF
	s_cmp_lt_u32 s82, s66                                      // 000000009B14: BF0A4252
	s_cselect_b32 s21, s36, s60                                // 000000009B18: 85153C24
	s_mov_b64 exec, s[20:21]                                   // 000000009B1C: BEFE0114
	global_atomic_add_f32 v6, v131, s[8:9] offset:8            // 000000009B20: DD348008 00088306
	global_atomic_add_f32 v6, v135, s[8:9] offset:264          // 000000009B28: DD348108 00088706
	s_mov_b64 exec, s[36:37]                                   // 000000009B30: BEFE0124
	v_mov_b32_e32 v6, v76                                      // 000000009B34: 7E0C034C
	s_mov_b64 s[60:61], 0                                      // 000000009B38: BEBC0180
	v_readlane_b32 s82, v3, 28                                 // 000000009B3C: D2890052 00013903
	s_and_b32 s82, s82, 0xffffff                               // 000000009B44: 8652FF52 00FFFFFF
	s_cmp_lt_u32 s82, s66                                      // 000000009B4C: BF0A4252
	s_cselect_b32 s20, s36, s60                                // 000000009B50: 85143C24
	v_readlane_b32 s82, v3, 29                                 // 000000009B54: D2890052 00013B03
	s_and_b32 s82, s82, 0xffffff                               // 000000009B5C: 8652FF52 00FFFFFF
	s_cmp_lt_u32 s82, s66                                      // 000000009B64: BF0A4252
	s_cselect_b32 s21, s36, s60                                // 000000009B68: 85153C24
	s_mov_b64 exec, s[20:21]                                   // 000000009B6C: BEFE0114
	global_atomic_add_f32 v6, v138, s[8:9] offset:8            // 000000009B70: DD348008 00088A06
	global_atomic_add_f32 v6, v142, s[8:9] offset:264          // 000000009B78: DD348108 00088E06
	s_mov_b64 exec, s[36:37]                                   // 000000009B80: BEFE0124
	v_mov_b32_e32 v6, v77                                      // 000000009B84: 7E0C034D
	s_mov_b64 s[60:61], 0                                      // 000000009B88: BEBC0180
	v_readlane_b32 s82, v3, 30                                 // 000000009B8C: D2890052 00013D03
	s_and_b32 s82, s82, 0xffffff                               // 000000009B94: 8652FF52 00FFFFFF
	s_cmp_lt_u32 s82, s66                                      // 000000009B9C: BF0A4252
	s_cselect_b32 s20, s36, s60                                // 000000009BA0: 85143C24
	v_readlane_b32 s82, v3, 31                                 // 000000009BA4: D2890052 00013F03
	s_and_b32 s82, s82, 0xffffff                               // 000000009BAC: 8652FF52 00FFFFFF
	s_cmp_lt_u32 s82, s66                                      // 000000009BB4: BF0A4252
	s_cselect_b32 s21, s36, s60                                // 000000009BB8: 85153C24
	s_mov_b64 exec, s[20:21]                                   // 000000009BBC: BEFE0114
	global_atomic_add_f32 v6, v139, s[8:9] offset:8            // 000000009BC0: DD348008 00088B06
	global_atomic_add_f32 v6, v143, s[8:9] offset:264          // 000000009BC8: DD348108 00088F06
	s_mov_b64 exec, s[36:37]                                   // 000000009BD0: BEFE0124
	ds_write_b64 v20, v[144:145]                               // 000000009BD4: D89A0000 00009014
	ds_write_b64 v20, v[148:149] offset:4352                   // 000000009BDC: D89A1100 00009414
	ds_write_b64 v20, v[152:153] offset:8704                   // 000000009BE4: D89A2200 00009814
	ds_write_b64 v20, v[156:157] offset:13056                  // 000000009BEC: D89A3300 00009C14
	ds_write_b64 v20, v[160:161] offset:17408                  // 000000009BF4: D89A4400 0000A014
	ds_write_b64 v20, v[164:165] offset:21760                  // 000000009BFC: D89A5500 0000A414
	ds_write_b64 v20, v[168:169] offset:26112                  // 000000009C04: D89A6600 0000A814
	ds_write_b64 v20, v[172:173] offset:30464                  // 000000009C0C: D89A7700 0000AC14
	ds_write_b64 v20, v[176:177] offset:2176                   // 000000009C14: D89A0880 0000B014
	ds_write_b64 v20, v[180:181] offset:6528                   // 000000009C1C: D89A1980 0000B414
	ds_write_b64 v20, v[184:185] offset:10880                  // 000000009C24: D89A2A80 0000B814
	ds_write_b64 v20, v[188:189] offset:15232                  // 000000009C2C: D89A3B80 0000BC14
	ds_write_b64 v20, v[192:193] offset:19584                  // 000000009C34: D89A4C80 0000C014
	ds_write_b64 v20, v[196:197] offset:23936                  // 000000009C3C: D89A5D80 0000C414
	ds_write_b64 v20, v[200:201] offset:28288                  // 000000009C44: D89A6E80 0000C814
	ds_write_b64 v20, v[204:205] offset:32640                  // 000000009C4C: D89A7F80 0000CC14
	s_waitcnt lgkmcnt(0)                                       // 000000009C54: BF8CC07F
	s_barrier                                                  // 000000009C58: BF8A0000
	ds_read_b32 v144, v21                                      // 000000009C5C: D86C0000 90000015
	ds_read_b32 v145, v21 offset:64                            // 000000009C64: D86C0040 91000015
	ds_read_b32 v148, v21 offset:2176                          // 000000009C6C: D86C0880 94000015
	ds_read_b32 v149, v21 offset:2240                          // 000000009C74: D86C08C0 95000015
	ds_read_b32 v152, v21 offset:4352                          // 000000009C7C: D86C1100 98000015
	ds_read_b32 v153, v21 offset:4416                          // 000000009C84: D86C1140 99000015
	ds_read_b32 v156, v21 offset:6528                          // 000000009C8C: D86C1980 9C000015
	ds_read_b32 v157, v21 offset:6592                          // 000000009C94: D86C19C0 9D000015
	ds_read_b32 v160, v21 offset:8704                          // 000000009C9C: D86C2200 A0000015
	ds_read_b32 v161, v21 offset:8768                          // 000000009CA4: D86C2240 A1000015
	ds_read_b32 v164, v21 offset:10880                         // 000000009CAC: D86C2A80 A4000015
	ds_read_b32 v165, v21 offset:10944                         // 000000009CB4: D86C2AC0 A5000015
	ds_read_b32 v168, v21 offset:13056                         // 000000009CBC: D86C3300 A8000015
	ds_read_b32 v169, v21 offset:13120                         // 000000009CC4: D86C3340 A9000015
	ds_read_b32 v172, v21 offset:15232                         // 000000009CCC: D86C3B80 AC000015
	ds_read_b32 v173, v21 offset:15296                         // 000000009CD4: D86C3BC0 AD000015
	ds_read_b32 v176, v21 offset:17408                         // 000000009CDC: D86C4400 B0000015
	ds_read_b32 v177, v21 offset:17472                         // 000000009CE4: D86C4440 B1000015
	ds_read_b32 v180, v21 offset:19584                         // 000000009CEC: D86C4C80 B4000015
	ds_read_b32 v181, v21 offset:19648                         // 000000009CF4: D86C4CC0 B5000015
	ds_read_b32 v184, v21 offset:21760                         // 000000009CFC: D86C5500 B8000015
	ds_read_b32 v185, v21 offset:21824                         // 000000009D04: D86C5540 B9000015
	ds_read_b32 v188, v21 offset:23936                         // 000000009D0C: D86C5D80 BC000015
	ds_read_b32 v189, v21 offset:24000                         // 000000009D14: D86C5DC0 BD000015
	ds_read_b32 v192, v21 offset:26112                         // 000000009D1C: D86C6600 C0000015
	ds_read_b32 v193, v21 offset:26176                         // 000000009D24: D86C6640 C1000015
	ds_read_b32 v196, v21 offset:28288                         // 000000009D2C: D86C6E80 C4000015
	ds_read_b32 v197, v21 offset:28352                         // 000000009D34: D86C6EC0 C5000015
	ds_read_b32 v200, v21 offset:30464                         // 000000009D3C: D86C7700 C8000015
	ds_read_b32 v201, v21 offset:30528                         // 000000009D44: D86C7740 C9000015
	ds_read_b32 v204, v21 offset:32640                         // 000000009D4C: D86C7F80 CC000015
	ds_read_b32 v205, v21 offset:32704                         // 000000009D54: D86C7FC0 CD000015
	s_mul_i32 s60, s65, 4                                      // 000000009D5C: 923C8441
	s_add_u32 s8, s60, s8                                      // 000000009D60: 8008083C
	s_addc_u32 s9, 0, s9                                       // 000000009D64: 82090980
	s_waitcnt lgkmcnt(0)                                       // 000000009D68: BF8CC07F
	v_mov_b32_e32 v7, 0                                        // 000000009D6C: 7E0E0280
	s_mov_b64 exec, s[36:37]                                   // 000000009D70: BEFE0124
	v_mov_b32_e32 v6, v62                                      // 000000009D74: 7E0C033E
	s_mov_b64 s[60:61], 0                                      // 000000009D78: BEBC0180
	v_readlane_b32 s82, v3, 0                                  // 000000009D7C: D2890052 00010103
	s_and_b32 s82, s82, 0xffffff                               // 000000009D84: 8652FF52 00FFFFFF
	s_cmp_lt_u32 s82, s66                                      // 000000009D8C: BF0A4252
	s_cselect_b32 s20, s36, s60                                // 000000009D90: 85143C24
	v_readlane_b32 s82, v3, 1                                  // 000000009D94: D2890052 00010303
	s_and_b32 s82, s82, 0xffffff                               // 000000009D9C: 8652FF52 00FFFFFF
	s_cmp_lt_u32 s82, s66                                      // 000000009DA4: BF0A4252
	s_cselect_b32 s21, s36, s60                                // 000000009DA8: 85153C24
	s_mov_b64 exec, s[20:21]                                   // 000000009DAC: BEFE0114
	global_atomic_add_f32 v6, v144, s[8:9]                     // 000000009DB0: DD348000 00089006
	global_atomic_add_f32 v6, v148, s[8:9] offset:256          // 000000009DB8: DD348100 00089406
	s_mov_b64 exec, s[36:37]                                   // 000000009DC0: BEFE0124
	v_mov_b32_e32 v6, v63                                      // 000000009DC4: 7E0C033F
	s_mov_b64 s[60:61], 0                                      // 000000009DC8: BEBC0180
	v_readlane_b32 s82, v3, 2                                  // 000000009DCC: D2890052 00010503
	s_and_b32 s82, s82, 0xffffff                               // 000000009DD4: 8652FF52 00FFFFFF
	s_cmp_lt_u32 s82, s66                                      // 000000009DDC: BF0A4252
	s_cselect_b32 s20, s36, s60                                // 000000009DE0: 85143C24
	v_readlane_b32 s82, v3, 3                                  // 000000009DE4: D2890052 00010703
	s_and_b32 s82, s82, 0xffffff                               // 000000009DEC: 8652FF52 00FFFFFF
	s_cmp_lt_u32 s82, s66                                      // 000000009DF4: BF0A4252
	s_cselect_b32 s21, s36, s60                                // 000000009DF8: 85153C24
	s_mov_b64 exec, s[20:21]                                   // 000000009DFC: BEFE0114
	global_atomic_add_f32 v6, v145, s[8:9]                     // 000000009E00: DD348000 00089106
	global_atomic_add_f32 v6, v149, s[8:9] offset:256          // 000000009E08: DD348100 00089506
	s_mov_b64 exec, s[36:37]                                   // 000000009E10: BEFE0124
	v_mov_b32_e32 v6, v64                                      // 000000009E14: 7E0C0340
	s_mov_b64 s[60:61], 0                                      // 000000009E18: BEBC0180
	v_readlane_b32 s82, v3, 4                                  // 000000009E1C: D2890052 00010903
	s_and_b32 s82, s82, 0xffffff                               // 000000009E24: 8652FF52 00FFFFFF
	s_cmp_lt_u32 s82, s66                                      // 000000009E2C: BF0A4252
	s_cselect_b32 s20, s36, s60                                // 000000009E30: 85143C24
	v_readlane_b32 s82, v3, 5                                  // 000000009E34: D2890052 00010B03
	s_and_b32 s82, s82, 0xffffff                               // 000000009E3C: 8652FF52 00FFFFFF
	s_cmp_lt_u32 s82, s66                                      // 000000009E44: BF0A4252
	s_cselect_b32 s21, s36, s60                                // 000000009E48: 85153C24
	s_mov_b64 exec, s[20:21]                                   // 000000009E4C: BEFE0114
	global_atomic_add_f32 v6, v152, s[8:9]                     // 000000009E50: DD348000 00089806
	global_atomic_add_f32 v6, v156, s[8:9] offset:256          // 000000009E58: DD348100 00089C06
	s_mov_b64 exec, s[36:37]                                   // 000000009E60: BEFE0124
	v_mov_b32_e32 v6, v65                                      // 000000009E64: 7E0C0341
	s_mov_b64 s[60:61], 0                                      // 000000009E68: BEBC0180
	v_readlane_b32 s82, v3, 6                                  // 000000009E6C: D2890052 00010D03
	s_and_b32 s82, s82, 0xffffff                               // 000000009E74: 8652FF52 00FFFFFF
	s_cmp_lt_u32 s82, s66                                      // 000000009E7C: BF0A4252
	s_cselect_b32 s20, s36, s60                                // 000000009E80: 85143C24
	v_readlane_b32 s82, v3, 7                                  // 000000009E84: D2890052 00010F03
	s_and_b32 s82, s82, 0xffffff                               // 000000009E8C: 8652FF52 00FFFFFF
	s_cmp_lt_u32 s82, s66                                      // 000000009E94: BF0A4252
	s_cselect_b32 s21, s36, s60                                // 000000009E98: 85153C24
	s_mov_b64 exec, s[20:21]                                   // 000000009E9C: BEFE0114
	global_atomic_add_f32 v6, v153, s[8:9]                     // 000000009EA0: DD348000 00089906
	global_atomic_add_f32 v6, v157, s[8:9] offset:256          // 000000009EA8: DD348100 00089D06
	s_mov_b64 exec, s[36:37]                                   // 000000009EB0: BEFE0124
	v_mov_b32_e32 v6, v66                                      // 000000009EB4: 7E0C0342
	s_mov_b64 s[60:61], 0                                      // 000000009EB8: BEBC0180
	v_readlane_b32 s82, v3, 8                                  // 000000009EBC: D2890052 00011103
	s_and_b32 s82, s82, 0xffffff                               // 000000009EC4: 8652FF52 00FFFFFF
	s_cmp_lt_u32 s82, s66                                      // 000000009ECC: BF0A4252
	s_cselect_b32 s20, s36, s60                                // 000000009ED0: 85143C24
	v_readlane_b32 s82, v3, 9                                  // 000000009ED4: D2890052 00011303
	s_and_b32 s82, s82, 0xffffff                               // 000000009EDC: 8652FF52 00FFFFFF
	s_cmp_lt_u32 s82, s66                                      // 000000009EE4: BF0A4252
	s_cselect_b32 s21, s36, s60                                // 000000009EE8: 85153C24
	s_mov_b64 exec, s[20:21]                                   // 000000009EEC: BEFE0114
	global_atomic_add_f32 v6, v160, s[8:9]                     // 000000009EF0: DD348000 0008A006
	global_atomic_add_f32 v6, v164, s[8:9] offset:256          // 000000009EF8: DD348100 0008A406
	s_mov_b64 exec, s[36:37]                                   // 000000009F00: BEFE0124
	v_mov_b32_e32 v6, v67                                      // 000000009F04: 7E0C0343
	s_mov_b64 s[60:61], 0                                      // 000000009F08: BEBC0180
	v_readlane_b32 s82, v3, 10                                 // 000000009F0C: D2890052 00011503
	s_and_b32 s82, s82, 0xffffff                               // 000000009F14: 8652FF52 00FFFFFF
	s_cmp_lt_u32 s82, s66                                      // 000000009F1C: BF0A4252
	s_cselect_b32 s20, s36, s60                                // 000000009F20: 85143C24
	v_readlane_b32 s82, v3, 11                                 // 000000009F24: D2890052 00011703
	s_and_b32 s82, s82, 0xffffff                               // 000000009F2C: 8652FF52 00FFFFFF
	s_cmp_lt_u32 s82, s66                                      // 000000009F34: BF0A4252
	s_cselect_b32 s21, s36, s60                                // 000000009F38: 85153C24
	s_mov_b64 exec, s[20:21]                                   // 000000009F3C: BEFE0114
	global_atomic_add_f32 v6, v161, s[8:9]                     // 000000009F40: DD348000 0008A106
	global_atomic_add_f32 v6, v165, s[8:9] offset:256          // 000000009F48: DD348100 0008A506
	s_mov_b64 exec, s[36:37]                                   // 000000009F50: BEFE0124
	v_mov_b32_e32 v6, v68                                      // 000000009F54: 7E0C0344
	s_mov_b64 s[60:61], 0                                      // 000000009F58: BEBC0180
	v_readlane_b32 s82, v3, 12                                 // 000000009F5C: D2890052 00011903
	s_and_b32 s82, s82, 0xffffff                               // 000000009F64: 8652FF52 00FFFFFF
	s_cmp_lt_u32 s82, s66                                      // 000000009F6C: BF0A4252
	s_cselect_b32 s20, s36, s60                                // 000000009F70: 85143C24
	v_readlane_b32 s82, v3, 13                                 // 000000009F74: D2890052 00011B03
	s_and_b32 s82, s82, 0xffffff                               // 000000009F7C: 8652FF52 00FFFFFF
	s_cmp_lt_u32 s82, s66                                      // 000000009F84: BF0A4252
	s_cselect_b32 s21, s36, s60                                // 000000009F88: 85153C24
	s_mov_b64 exec, s[20:21]                                   // 000000009F8C: BEFE0114
	global_atomic_add_f32 v6, v168, s[8:9]                     // 000000009F90: DD348000 0008A806
	global_atomic_add_f32 v6, v172, s[8:9] offset:256          // 000000009F98: DD348100 0008AC06
	s_mov_b64 exec, s[36:37]                                   // 000000009FA0: BEFE0124
	v_mov_b32_e32 v6, v69                                      // 000000009FA4: 7E0C0345
	s_mov_b64 s[60:61], 0                                      // 000000009FA8: BEBC0180
	v_readlane_b32 s82, v3, 14                                 // 000000009FAC: D2890052 00011D03
	s_and_b32 s82, s82, 0xffffff                               // 000000009FB4: 8652FF52 00FFFFFF
	s_cmp_lt_u32 s82, s66                                      // 000000009FBC: BF0A4252
	s_cselect_b32 s20, s36, s60                                // 000000009FC0: 85143C24
	v_readlane_b32 s82, v3, 15                                 // 000000009FC4: D2890052 00011F03
	s_and_b32 s82, s82, 0xffffff                               // 000000009FCC: 8652FF52 00FFFFFF
	s_cmp_lt_u32 s82, s66                                      // 000000009FD4: BF0A4252
	s_cselect_b32 s21, s36, s60                                // 000000009FD8: 85153C24
	s_mov_b64 exec, s[20:21]                                   // 000000009FDC: BEFE0114
	global_atomic_add_f32 v6, v169, s[8:9]                     // 000000009FE0: DD348000 0008A906
	global_atomic_add_f32 v6, v173, s[8:9] offset:256          // 000000009FE8: DD348100 0008AD06
	s_mov_b64 exec, s[36:37]                                   // 000000009FF0: BEFE0124
	v_mov_b32_e32 v6, v70                                      // 000000009FF4: 7E0C0346
	s_mov_b64 s[60:61], 0                                      // 000000009FF8: BEBC0180
	v_readlane_b32 s82, v3, 16                                 // 000000009FFC: D2890052 00012103
	s_and_b32 s82, s82, 0xffffff                               // 00000000A004: 8652FF52 00FFFFFF
	s_cmp_lt_u32 s82, s66                                      // 00000000A00C: BF0A4252
	s_cselect_b32 s20, s36, s60                                // 00000000A010: 85143C24
	v_readlane_b32 s82, v3, 17                                 // 00000000A014: D2890052 00012303
	s_and_b32 s82, s82, 0xffffff                               // 00000000A01C: 8652FF52 00FFFFFF
	s_cmp_lt_u32 s82, s66                                      // 00000000A024: BF0A4252
	s_cselect_b32 s21, s36, s60                                // 00000000A028: 85153C24
	s_mov_b64 exec, s[20:21]                                   // 00000000A02C: BEFE0114
	global_atomic_add_f32 v6, v176, s[8:9]                     // 00000000A030: DD348000 0008B006
	global_atomic_add_f32 v6, v180, s[8:9] offset:256          // 00000000A038: DD348100 0008B406
	s_mov_b64 exec, s[36:37]                                   // 00000000A040: BEFE0124
	v_mov_b32_e32 v6, v71                                      // 00000000A044: 7E0C0347
	s_mov_b64 s[60:61], 0                                      // 00000000A048: BEBC0180
	v_readlane_b32 s82, v3, 18                                 // 00000000A04C: D2890052 00012503
	s_and_b32 s82, s82, 0xffffff                               // 00000000A054: 8652FF52 00FFFFFF
	s_cmp_lt_u32 s82, s66                                      // 00000000A05C: BF0A4252
	s_cselect_b32 s20, s36, s60                                // 00000000A060: 85143C24
	v_readlane_b32 s82, v3, 19                                 // 00000000A064: D2890052 00012703
	s_and_b32 s82, s82, 0xffffff                               // 00000000A06C: 8652FF52 00FFFFFF
	s_cmp_lt_u32 s82, s66                                      // 00000000A074: BF0A4252
	s_cselect_b32 s21, s36, s60                                // 00000000A078: 85153C24
	s_mov_b64 exec, s[20:21]                                   // 00000000A07C: BEFE0114
	global_atomic_add_f32 v6, v177, s[8:9]                     // 00000000A080: DD348000 0008B106
	global_atomic_add_f32 v6, v181, s[8:9] offset:256          // 00000000A088: DD348100 0008B506
	s_mov_b64 exec, s[36:37]                                   // 00000000A090: BEFE0124
	v_mov_b32_e32 v6, v72                                      // 00000000A094: 7E0C0348
	s_mov_b64 s[60:61], 0                                      // 00000000A098: BEBC0180
	v_readlane_b32 s82, v3, 20                                 // 00000000A09C: D2890052 00012903
	s_and_b32 s82, s82, 0xffffff                               // 00000000A0A4: 8652FF52 00FFFFFF
	s_cmp_lt_u32 s82, s66                                      // 00000000A0AC: BF0A4252
	s_cselect_b32 s20, s36, s60                                // 00000000A0B0: 85143C24
	v_readlane_b32 s82, v3, 21                                 // 00000000A0B4: D2890052 00012B03
	s_and_b32 s82, s82, 0xffffff                               // 00000000A0BC: 8652FF52 00FFFFFF
	s_cmp_lt_u32 s82, s66                                      // 00000000A0C4: BF0A4252
	s_cselect_b32 s21, s36, s60                                // 00000000A0C8: 85153C24
	s_mov_b64 exec, s[20:21]                                   // 00000000A0CC: BEFE0114
	global_atomic_add_f32 v6, v184, s[8:9]                     // 00000000A0D0: DD348000 0008B806
	global_atomic_add_f32 v6, v188, s[8:9] offset:256          // 00000000A0D8: DD348100 0008BC06
	s_mov_b64 exec, s[36:37]                                   // 00000000A0E0: BEFE0124
	v_mov_b32_e32 v6, v73                                      // 00000000A0E4: 7E0C0349
	s_mov_b64 s[60:61], 0                                      // 00000000A0E8: BEBC0180
	v_readlane_b32 s82, v3, 22                                 // 00000000A0EC: D2890052 00012D03
	s_and_b32 s82, s82, 0xffffff                               // 00000000A0F4: 8652FF52 00FFFFFF
	s_cmp_lt_u32 s82, s66                                      // 00000000A0FC: BF0A4252
	s_cselect_b32 s20, s36, s60                                // 00000000A100: 85143C24
	v_readlane_b32 s82, v3, 23                                 // 00000000A104: D2890052 00012F03
	s_and_b32 s82, s82, 0xffffff                               // 00000000A10C: 8652FF52 00FFFFFF
	s_cmp_lt_u32 s82, s66                                      // 00000000A114: BF0A4252
	s_cselect_b32 s21, s36, s60                                // 00000000A118: 85153C24
	s_mov_b64 exec, s[20:21]                                   // 00000000A11C: BEFE0114
	global_atomic_add_f32 v6, v185, s[8:9]                     // 00000000A120: DD348000 0008B906
	global_atomic_add_f32 v6, v189, s[8:9] offset:256          // 00000000A128: DD348100 0008BD06
	s_mov_b64 exec, s[36:37]                                   // 00000000A130: BEFE0124
	v_mov_b32_e32 v6, v74                                      // 00000000A134: 7E0C034A
	s_mov_b64 s[60:61], 0                                      // 00000000A138: BEBC0180
	v_readlane_b32 s82, v3, 24                                 // 00000000A13C: D2890052 00013103
	s_and_b32 s82, s82, 0xffffff                               // 00000000A144: 8652FF52 00FFFFFF
	s_cmp_lt_u32 s82, s66                                      // 00000000A14C: BF0A4252
	s_cselect_b32 s20, s36, s60                                // 00000000A150: 85143C24
	v_readlane_b32 s82, v3, 25                                 // 00000000A154: D2890052 00013303
	s_and_b32 s82, s82, 0xffffff                               // 00000000A15C: 8652FF52 00FFFFFF
	s_cmp_lt_u32 s82, s66                                      // 00000000A164: BF0A4252
	s_cselect_b32 s21, s36, s60                                // 00000000A168: 85153C24
	s_mov_b64 exec, s[20:21]                                   // 00000000A16C: BEFE0114
	global_atomic_add_f32 v6, v192, s[8:9]                     // 00000000A170: DD348000 0008C006
	global_atomic_add_f32 v6, v196, s[8:9] offset:256          // 00000000A178: DD348100 0008C406
	s_mov_b64 exec, s[36:37]                                   // 00000000A180: BEFE0124
	v_mov_b32_e32 v6, v75                                      // 00000000A184: 7E0C034B
	s_mov_b64 s[60:61], 0                                      // 00000000A188: BEBC0180
	v_readlane_b32 s82, v3, 26                                 // 00000000A18C: D2890052 00013503
	s_and_b32 s82, s82, 0xffffff                               // 00000000A194: 8652FF52 00FFFFFF
	s_cmp_lt_u32 s82, s66                                      // 00000000A19C: BF0A4252
	s_cselect_b32 s20, s36, s60                                // 00000000A1A0: 85143C24
	v_readlane_b32 s82, v3, 27                                 // 00000000A1A4: D2890052 00013703
	s_and_b32 s82, s82, 0xffffff                               // 00000000A1AC: 8652FF52 00FFFFFF
	s_cmp_lt_u32 s82, s66                                      // 00000000A1B4: BF0A4252
	s_cselect_b32 s21, s36, s60                                // 00000000A1B8: 85153C24
	s_mov_b64 exec, s[20:21]                                   // 00000000A1BC: BEFE0114
	global_atomic_add_f32 v6, v193, s[8:9]                     // 00000000A1C0: DD348000 0008C106
	global_atomic_add_f32 v6, v197, s[8:9] offset:256          // 00000000A1C8: DD348100 0008C506
	s_mov_b64 exec, s[36:37]                                   // 00000000A1D0: BEFE0124
	v_mov_b32_e32 v6, v76                                      // 00000000A1D4: 7E0C034C
	s_mov_b64 s[60:61], 0                                      // 00000000A1D8: BEBC0180
	v_readlane_b32 s82, v3, 28                                 // 00000000A1DC: D2890052 00013903
	s_and_b32 s82, s82, 0xffffff                               // 00000000A1E4: 8652FF52 00FFFFFF
	s_cmp_lt_u32 s82, s66                                      // 00000000A1EC: BF0A4252
	s_cselect_b32 s20, s36, s60                                // 00000000A1F0: 85143C24
	v_readlane_b32 s82, v3, 29                                 // 00000000A1F4: D2890052 00013B03
	s_and_b32 s82, s82, 0xffffff                               // 00000000A1FC: 8652FF52 00FFFFFF
	s_cmp_lt_u32 s82, s66                                      // 00000000A204: BF0A4252
	s_cselect_b32 s21, s36, s60                                // 00000000A208: 85153C24
	s_mov_b64 exec, s[20:21]                                   // 00000000A20C: BEFE0114
	global_atomic_add_f32 v6, v200, s[8:9]                     // 00000000A210: DD348000 0008C806
	global_atomic_add_f32 v6, v204, s[8:9] offset:256          // 00000000A218: DD348100 0008CC06
	s_mov_b64 exec, s[36:37]                                   // 00000000A220: BEFE0124
	v_mov_b32_e32 v6, v77                                      // 00000000A224: 7E0C034D
	s_mov_b64 s[60:61], 0                                      // 00000000A228: BEBC0180
	v_readlane_b32 s82, v3, 30                                 // 00000000A22C: D2890052 00013D03
	s_and_b32 s82, s82, 0xffffff                               // 00000000A234: 8652FF52 00FFFFFF
	s_cmp_lt_u32 s82, s66                                      // 00000000A23C: BF0A4252
	s_cselect_b32 s20, s36, s60                                // 00000000A240: 85143C24
	v_readlane_b32 s82, v3, 31                                 // 00000000A244: D2890052 00013F03
	s_and_b32 s82, s82, 0xffffff                               // 00000000A24C: 8652FF52 00FFFFFF
	s_cmp_lt_u32 s82, s66                                      // 00000000A254: BF0A4252
	s_cselect_b32 s21, s36, s60                                // 00000000A258: 85153C24
	s_mov_b64 exec, s[20:21]                                   // 00000000A25C: BEFE0114
	global_atomic_add_f32 v6, v201, s[8:9]                     // 00000000A260: DD348000 0008C906
	global_atomic_add_f32 v6, v205, s[8:9] offset:256          // 00000000A268: DD348100 0008CD06
	s_mov_b64 exec, s[36:37]                                   // 00000000A270: BEFE0124
	ds_write_b64 v20, v[146:147]                               // 00000000A274: D89A0000 00009214
	ds_write_b64 v20, v[150:151] offset:4352                   // 00000000A27C: D89A1100 00009614
	ds_write_b64 v20, v[154:155] offset:8704                   // 00000000A284: D89A2200 00009A14
	ds_write_b64 v20, v[158:159] offset:13056                  // 00000000A28C: D89A3300 00009E14
	ds_write_b64 v20, v[162:163] offset:17408                  // 00000000A294: D89A4400 0000A214
	ds_write_b64 v20, v[166:167] offset:21760                  // 00000000A29C: D89A5500 0000A614
	ds_write_b64 v20, v[170:171] offset:26112                  // 00000000A2A4: D89A6600 0000AA14
	ds_write_b64 v20, v[174:175] offset:30464                  // 00000000A2AC: D89A7700 0000AE14
	ds_write_b64 v20, v[178:179] offset:2176                   // 00000000A2B4: D89A0880 0000B214
	ds_write_b64 v20, v[182:183] offset:6528                   // 00000000A2BC: D89A1980 0000B614
	ds_write_b64 v20, v[186:187] offset:10880                  // 00000000A2C4: D89A2A80 0000BA14
	ds_write_b64 v20, v[190:191] offset:15232                  // 00000000A2CC: D89A3B80 0000BE14
	ds_write_b64 v20, v[194:195] offset:19584                  // 00000000A2D4: D89A4C80 0000C214
	ds_write_b64 v20, v[198:199] offset:23936                  // 00000000A2DC: D89A5D80 0000C614
	ds_write_b64 v20, v[202:203] offset:28288                  // 00000000A2E4: D89A6E80 0000CA14
	ds_write_b64 v20, v[206:207] offset:32640                  // 00000000A2EC: D89A7F80 0000CE14
	s_waitcnt lgkmcnt(0)                                       // 00000000A2F4: BF8CC07F
	s_barrier                                                  // 00000000A2F8: BF8A0000
	ds_read_b32 v146, v21                                      // 00000000A2FC: D86C0000 92000015
	ds_read_b32 v147, v21 offset:64                            // 00000000A304: D86C0040 93000015
	ds_read_b32 v150, v21 offset:2176                          // 00000000A30C: D86C0880 96000015
	ds_read_b32 v151, v21 offset:2240                          // 00000000A314: D86C08C0 97000015
	ds_read_b32 v154, v21 offset:4352                          // 00000000A31C: D86C1100 9A000015
	ds_read_b32 v155, v21 offset:4416                          // 00000000A324: D86C1140 9B000015
	ds_read_b32 v158, v21 offset:6528                          // 00000000A32C: D86C1980 9E000015
	ds_read_b32 v159, v21 offset:6592                          // 00000000A334: D86C19C0 9F000015
	ds_read_b32 v162, v21 offset:8704                          // 00000000A33C: D86C2200 A2000015
	ds_read_b32 v163, v21 offset:8768                          // 00000000A344: D86C2240 A3000015
	ds_read_b32 v166, v21 offset:10880                         // 00000000A34C: D86C2A80 A6000015
	ds_read_b32 v167, v21 offset:10944                         // 00000000A354: D86C2AC0 A7000015
	ds_read_b32 v170, v21 offset:13056                         // 00000000A35C: D86C3300 AA000015
	ds_read_b32 v171, v21 offset:13120                         // 00000000A364: D86C3340 AB000015
	ds_read_b32 v174, v21 offset:15232                         // 00000000A36C: D86C3B80 AE000015
	ds_read_b32 v175, v21 offset:15296                         // 00000000A374: D86C3BC0 AF000015
	ds_read_b32 v178, v21 offset:17408                         // 00000000A37C: D86C4400 B2000015
	ds_read_b32 v179, v21 offset:17472                         // 00000000A384: D86C4440 B3000015
	ds_read_b32 v182, v21 offset:19584                         // 00000000A38C: D86C4C80 B6000015
	ds_read_b32 v183, v21 offset:19648                         // 00000000A394: D86C4CC0 B7000015
	ds_read_b32 v186, v21 offset:21760                         // 00000000A39C: D86C5500 BA000015
	ds_read_b32 v187, v21 offset:21824                         // 00000000A3A4: D86C5540 BB000015
	ds_read_b32 v190, v21 offset:23936                         // 00000000A3AC: D86C5D80 BE000015
	ds_read_b32 v191, v21 offset:24000                         // 00000000A3B4: D86C5DC0 BF000015
	ds_read_b32 v194, v21 offset:26112                         // 00000000A3BC: D86C6600 C2000015
	ds_read_b32 v195, v21 offset:26176                         // 00000000A3C4: D86C6640 C3000015
	ds_read_b32 v198, v21 offset:28288                         // 00000000A3CC: D86C6E80 C6000015
	ds_read_b32 v199, v21 offset:28352                         // 00000000A3D4: D86C6EC0 C7000015
	ds_read_b32 v202, v21 offset:30464                         // 00000000A3DC: D86C7700 CA000015
	ds_read_b32 v203, v21 offset:30528                         // 00000000A3E4: D86C7740 CB000015
	ds_read_b32 v206, v21 offset:32640                         // 00000000A3EC: D86C7F80 CE000015
	ds_read_b32 v207, v21 offset:32704                         // 00000000A3F4: D86C7FC0 CF000015
	s_waitcnt lgkmcnt(0)                                       // 00000000A3FC: BF8CC07F
	v_mov_b32_e32 v7, 0                                        // 00000000A400: 7E0E0280
	s_mov_b64 exec, s[36:37]                                   // 00000000A404: BEFE0124
	v_mov_b32_e32 v6, v62                                      // 00000000A408: 7E0C033E
	s_mov_b64 s[60:61], 0                                      // 00000000A40C: BEBC0180
	v_readlane_b32 s82, v3, 0                                  // 00000000A410: D2890052 00010103
	s_and_b32 s82, s82, 0xffffff                               // 00000000A418: 8652FF52 00FFFFFF
	s_cmp_lt_u32 s82, s66                                      // 00000000A420: BF0A4252
	s_cselect_b32 s20, s36, s60                                // 00000000A424: 85143C24
	v_readlane_b32 s82, v3, 1                                  // 00000000A428: D2890052 00010303
	s_and_b32 s82, s82, 0xffffff                               // 00000000A430: 8652FF52 00FFFFFF
	s_cmp_lt_u32 s82, s66                                      // 00000000A438: BF0A4252
	s_cselect_b32 s21, s36, s60                                // 00000000A43C: 85153C24
	s_mov_b64 exec, s[20:21]                                   // 00000000A440: BEFE0114
	global_atomic_add_f32 v6, v146, s[8:9] offset:8            // 00000000A444: DD348008 00089206
	global_atomic_add_f32 v6, v150, s[8:9] offset:264          // 00000000A44C: DD348108 00089606
	s_mov_b64 exec, s[36:37]                                   // 00000000A454: BEFE0124
	v_mov_b32_e32 v6, v63                                      // 00000000A458: 7E0C033F
	s_mov_b64 s[60:61], 0                                      // 00000000A45C: BEBC0180
	v_readlane_b32 s82, v3, 2                                  // 00000000A460: D2890052 00010503
	s_and_b32 s82, s82, 0xffffff                               // 00000000A468: 8652FF52 00FFFFFF
	s_cmp_lt_u32 s82, s66                                      // 00000000A470: BF0A4252
	s_cselect_b32 s20, s36, s60                                // 00000000A474: 85143C24
	v_readlane_b32 s82, v3, 3                                  // 00000000A478: D2890052 00010703
	s_and_b32 s82, s82, 0xffffff                               // 00000000A480: 8652FF52 00FFFFFF
	s_cmp_lt_u32 s82, s66                                      // 00000000A488: BF0A4252
	s_cselect_b32 s21, s36, s60                                // 00000000A48C: 85153C24
	s_mov_b64 exec, s[20:21]                                   // 00000000A490: BEFE0114
	global_atomic_add_f32 v6, v147, s[8:9] offset:8            // 00000000A494: DD348008 00089306
	global_atomic_add_f32 v6, v151, s[8:9] offset:264          // 00000000A49C: DD348108 00089706
	s_mov_b64 exec, s[36:37]                                   // 00000000A4A4: BEFE0124
	v_mov_b32_e32 v6, v64                                      // 00000000A4A8: 7E0C0340
	s_mov_b64 s[60:61], 0                                      // 00000000A4AC: BEBC0180
	v_readlane_b32 s82, v3, 4                                  // 00000000A4B0: D2890052 00010903
	s_and_b32 s82, s82, 0xffffff                               // 00000000A4B8: 8652FF52 00FFFFFF
	s_cmp_lt_u32 s82, s66                                      // 00000000A4C0: BF0A4252
	s_cselect_b32 s20, s36, s60                                // 00000000A4C4: 85143C24
	v_readlane_b32 s82, v3, 5                                  // 00000000A4C8: D2890052 00010B03
	s_and_b32 s82, s82, 0xffffff                               // 00000000A4D0: 8652FF52 00FFFFFF
	s_cmp_lt_u32 s82, s66                                      // 00000000A4D8: BF0A4252
	s_cselect_b32 s21, s36, s60                                // 00000000A4DC: 85153C24
	s_mov_b64 exec, s[20:21]                                   // 00000000A4E0: BEFE0114
	global_atomic_add_f32 v6, v154, s[8:9] offset:8            // 00000000A4E4: DD348008 00089A06
	global_atomic_add_f32 v6, v158, s[8:9] offset:264          // 00000000A4EC: DD348108 00089E06
	s_mov_b64 exec, s[36:37]                                   // 00000000A4F4: BEFE0124
	v_mov_b32_e32 v6, v65                                      // 00000000A4F8: 7E0C0341
	s_mov_b64 s[60:61], 0                                      // 00000000A4FC: BEBC0180
	v_readlane_b32 s82, v3, 6                                  // 00000000A500: D2890052 00010D03
	s_and_b32 s82, s82, 0xffffff                               // 00000000A508: 8652FF52 00FFFFFF
	s_cmp_lt_u32 s82, s66                                      // 00000000A510: BF0A4252
	s_cselect_b32 s20, s36, s60                                // 00000000A514: 85143C24
	v_readlane_b32 s82, v3, 7                                  // 00000000A518: D2890052 00010F03
	s_and_b32 s82, s82, 0xffffff                               // 00000000A520: 8652FF52 00FFFFFF
	s_cmp_lt_u32 s82, s66                                      // 00000000A528: BF0A4252
	s_cselect_b32 s21, s36, s60                                // 00000000A52C: 85153C24
	s_mov_b64 exec, s[20:21]                                   // 00000000A530: BEFE0114
	global_atomic_add_f32 v6, v155, s[8:9] offset:8            // 00000000A534: DD348008 00089B06
	global_atomic_add_f32 v6, v159, s[8:9] offset:264          // 00000000A53C: DD348108 00089F06
	s_mov_b64 exec, s[36:37]                                   // 00000000A544: BEFE0124
	v_mov_b32_e32 v6, v66                                      // 00000000A548: 7E0C0342
	s_mov_b64 s[60:61], 0                                      // 00000000A54C: BEBC0180
	v_readlane_b32 s82, v3, 8                                  // 00000000A550: D2890052 00011103
	s_and_b32 s82, s82, 0xffffff                               // 00000000A558: 8652FF52 00FFFFFF
	s_cmp_lt_u32 s82, s66                                      // 00000000A560: BF0A4252
	s_cselect_b32 s20, s36, s60                                // 00000000A564: 85143C24
	v_readlane_b32 s82, v3, 9                                  // 00000000A568: D2890052 00011303
	s_and_b32 s82, s82, 0xffffff                               // 00000000A570: 8652FF52 00FFFFFF
	s_cmp_lt_u32 s82, s66                                      // 00000000A578: BF0A4252
	s_cselect_b32 s21, s36, s60                                // 00000000A57C: 85153C24
	s_mov_b64 exec, s[20:21]                                   // 00000000A580: BEFE0114
	global_atomic_add_f32 v6, v162, s[8:9] offset:8            // 00000000A584: DD348008 0008A206
	global_atomic_add_f32 v6, v166, s[8:9] offset:264          // 00000000A58C: DD348108 0008A606
	s_mov_b64 exec, s[36:37]                                   // 00000000A594: BEFE0124
	v_mov_b32_e32 v6, v67                                      // 00000000A598: 7E0C0343
	s_mov_b64 s[60:61], 0                                      // 00000000A59C: BEBC0180
	v_readlane_b32 s82, v3, 10                                 // 00000000A5A0: D2890052 00011503
	s_and_b32 s82, s82, 0xffffff                               // 00000000A5A8: 8652FF52 00FFFFFF
	s_cmp_lt_u32 s82, s66                                      // 00000000A5B0: BF0A4252
	s_cselect_b32 s20, s36, s60                                // 00000000A5B4: 85143C24
	v_readlane_b32 s82, v3, 11                                 // 00000000A5B8: D2890052 00011703
	s_and_b32 s82, s82, 0xffffff                               // 00000000A5C0: 8652FF52 00FFFFFF
	s_cmp_lt_u32 s82, s66                                      // 00000000A5C8: BF0A4252
	s_cselect_b32 s21, s36, s60                                // 00000000A5CC: 85153C24
	s_mov_b64 exec, s[20:21]                                   // 00000000A5D0: BEFE0114
	global_atomic_add_f32 v6, v163, s[8:9] offset:8            // 00000000A5D4: DD348008 0008A306
	global_atomic_add_f32 v6, v167, s[8:9] offset:264          // 00000000A5DC: DD348108 0008A706
	s_mov_b64 exec, s[36:37]                                   // 00000000A5E4: BEFE0124
	v_mov_b32_e32 v6, v68                                      // 00000000A5E8: 7E0C0344
	s_mov_b64 s[60:61], 0                                      // 00000000A5EC: BEBC0180
	v_readlane_b32 s82, v3, 12                                 // 00000000A5F0: D2890052 00011903
	s_and_b32 s82, s82, 0xffffff                               // 00000000A5F8: 8652FF52 00FFFFFF
	s_cmp_lt_u32 s82, s66                                      // 00000000A600: BF0A4252
	s_cselect_b32 s20, s36, s60                                // 00000000A604: 85143C24
	v_readlane_b32 s82, v3, 13                                 // 00000000A608: D2890052 00011B03
	s_and_b32 s82, s82, 0xffffff                               // 00000000A610: 8652FF52 00FFFFFF
	s_cmp_lt_u32 s82, s66                                      // 00000000A618: BF0A4252
	s_cselect_b32 s21, s36, s60                                // 00000000A61C: 85153C24
	s_mov_b64 exec, s[20:21]                                   // 00000000A620: BEFE0114
	global_atomic_add_f32 v6, v170, s[8:9] offset:8            // 00000000A624: DD348008 0008AA06
	global_atomic_add_f32 v6, v174, s[8:9] offset:264          // 00000000A62C: DD348108 0008AE06
	s_mov_b64 exec, s[36:37]                                   // 00000000A634: BEFE0124
	v_mov_b32_e32 v6, v69                                      // 00000000A638: 7E0C0345
	s_mov_b64 s[60:61], 0                                      // 00000000A63C: BEBC0180
	v_readlane_b32 s82, v3, 14                                 // 00000000A640: D2890052 00011D03
	s_and_b32 s82, s82, 0xffffff                               // 00000000A648: 8652FF52 00FFFFFF
	s_cmp_lt_u32 s82, s66                                      // 00000000A650: BF0A4252
	s_cselect_b32 s20, s36, s60                                // 00000000A654: 85143C24
	v_readlane_b32 s82, v3, 15                                 // 00000000A658: D2890052 00011F03
	s_and_b32 s82, s82, 0xffffff                               // 00000000A660: 8652FF52 00FFFFFF
	s_cmp_lt_u32 s82, s66                                      // 00000000A668: BF0A4252
	s_cselect_b32 s21, s36, s60                                // 00000000A66C: 85153C24
	s_mov_b64 exec, s[20:21]                                   // 00000000A670: BEFE0114
	global_atomic_add_f32 v6, v171, s[8:9] offset:8            // 00000000A674: DD348008 0008AB06
	global_atomic_add_f32 v6, v175, s[8:9] offset:264          // 00000000A67C: DD348108 0008AF06
	s_mov_b64 exec, s[36:37]                                   // 00000000A684: BEFE0124
	v_mov_b32_e32 v6, v70                                      // 00000000A688: 7E0C0346
	s_mov_b64 s[60:61], 0                                      // 00000000A68C: BEBC0180
	v_readlane_b32 s82, v3, 16                                 // 00000000A690: D2890052 00012103
	s_and_b32 s82, s82, 0xffffff                               // 00000000A698: 8652FF52 00FFFFFF
	s_cmp_lt_u32 s82, s66                                      // 00000000A6A0: BF0A4252
	s_cselect_b32 s20, s36, s60                                // 00000000A6A4: 85143C24
	v_readlane_b32 s82, v3, 17                                 // 00000000A6A8: D2890052 00012303
	s_and_b32 s82, s82, 0xffffff                               // 00000000A6B0: 8652FF52 00FFFFFF
	s_cmp_lt_u32 s82, s66                                      // 00000000A6B8: BF0A4252
	s_cselect_b32 s21, s36, s60                                // 00000000A6BC: 85153C24
	s_mov_b64 exec, s[20:21]                                   // 00000000A6C0: BEFE0114
	global_atomic_add_f32 v6, v178, s[8:9] offset:8            // 00000000A6C4: DD348008 0008B206
	global_atomic_add_f32 v6, v182, s[8:9] offset:264          // 00000000A6CC: DD348108 0008B606
	s_mov_b64 exec, s[36:37]                                   // 00000000A6D4: BEFE0124
	v_mov_b32_e32 v6, v71                                      // 00000000A6D8: 7E0C0347
	s_mov_b64 s[60:61], 0                                      // 00000000A6DC: BEBC0180
	v_readlane_b32 s82, v3, 18                                 // 00000000A6E0: D2890052 00012503
	s_and_b32 s82, s82, 0xffffff                               // 00000000A6E8: 8652FF52 00FFFFFF
	s_cmp_lt_u32 s82, s66                                      // 00000000A6F0: BF0A4252
	s_cselect_b32 s20, s36, s60                                // 00000000A6F4: 85143C24
	v_readlane_b32 s82, v3, 19                                 // 00000000A6F8: D2890052 00012703
	s_and_b32 s82, s82, 0xffffff                               // 00000000A700: 8652FF52 00FFFFFF
	s_cmp_lt_u32 s82, s66                                      // 00000000A708: BF0A4252
	s_cselect_b32 s21, s36, s60                                // 00000000A70C: 85153C24
	s_mov_b64 exec, s[20:21]                                   // 00000000A710: BEFE0114
	global_atomic_add_f32 v6, v179, s[8:9] offset:8            // 00000000A714: DD348008 0008B306
	global_atomic_add_f32 v6, v183, s[8:9] offset:264          // 00000000A71C: DD348108 0008B706
	s_mov_b64 exec, s[36:37]                                   // 00000000A724: BEFE0124
	v_mov_b32_e32 v6, v72                                      // 00000000A728: 7E0C0348
	s_mov_b64 s[60:61], 0                                      // 00000000A72C: BEBC0180
	v_readlane_b32 s82, v3, 20                                 // 00000000A730: D2890052 00012903
	s_and_b32 s82, s82, 0xffffff                               // 00000000A738: 8652FF52 00FFFFFF
	s_cmp_lt_u32 s82, s66                                      // 00000000A740: BF0A4252
	s_cselect_b32 s20, s36, s60                                // 00000000A744: 85143C24
	v_readlane_b32 s82, v3, 21                                 // 00000000A748: D2890052 00012B03
	s_and_b32 s82, s82, 0xffffff                               // 00000000A750: 8652FF52 00FFFFFF
	s_cmp_lt_u32 s82, s66                                      // 00000000A758: BF0A4252
	s_cselect_b32 s21, s36, s60                                // 00000000A75C: 85153C24
	s_mov_b64 exec, s[20:21]                                   // 00000000A760: BEFE0114
	global_atomic_add_f32 v6, v186, s[8:9] offset:8            // 00000000A764: DD348008 0008BA06
	global_atomic_add_f32 v6, v190, s[8:9] offset:264          // 00000000A76C: DD348108 0008BE06
	s_mov_b64 exec, s[36:37]                                   // 00000000A774: BEFE0124
	v_mov_b32_e32 v6, v73                                      // 00000000A778: 7E0C0349
	s_mov_b64 s[60:61], 0                                      // 00000000A77C: BEBC0180
	v_readlane_b32 s82, v3, 22                                 // 00000000A780: D2890052 00012D03
	s_and_b32 s82, s82, 0xffffff                               // 00000000A788: 8652FF52 00FFFFFF
	s_cmp_lt_u32 s82, s66                                      // 00000000A790: BF0A4252
	s_cselect_b32 s20, s36, s60                                // 00000000A794: 85143C24
	v_readlane_b32 s82, v3, 23                                 // 00000000A798: D2890052 00012F03
	s_and_b32 s82, s82, 0xffffff                               // 00000000A7A0: 8652FF52 00FFFFFF
	s_cmp_lt_u32 s82, s66                                      // 00000000A7A8: BF0A4252
	s_cselect_b32 s21, s36, s60                                // 00000000A7AC: 85153C24
	s_mov_b64 exec, s[20:21]                                   // 00000000A7B0: BEFE0114
	global_atomic_add_f32 v6, v187, s[8:9] offset:8            // 00000000A7B4: DD348008 0008BB06
	global_atomic_add_f32 v6, v191, s[8:9] offset:264          // 00000000A7BC: DD348108 0008BF06
	s_mov_b64 exec, s[36:37]                                   // 00000000A7C4: BEFE0124
	v_mov_b32_e32 v6, v74                                      // 00000000A7C8: 7E0C034A
	s_mov_b64 s[60:61], 0                                      // 00000000A7CC: BEBC0180
	v_readlane_b32 s82, v3, 24                                 // 00000000A7D0: D2890052 00013103
	s_and_b32 s82, s82, 0xffffff                               // 00000000A7D8: 8652FF52 00FFFFFF
	s_cmp_lt_u32 s82, s66                                      // 00000000A7E0: BF0A4252
	s_cselect_b32 s20, s36, s60                                // 00000000A7E4: 85143C24
	v_readlane_b32 s82, v3, 25                                 // 00000000A7E8: D2890052 00013303
	s_and_b32 s82, s82, 0xffffff                               // 00000000A7F0: 8652FF52 00FFFFFF
	s_cmp_lt_u32 s82, s66                                      // 00000000A7F8: BF0A4252
	s_cselect_b32 s21, s36, s60                                // 00000000A7FC: 85153C24
	s_mov_b64 exec, s[20:21]                                   // 00000000A800: BEFE0114
	global_atomic_add_f32 v6, v194, s[8:9] offset:8            // 00000000A804: DD348008 0008C206
	global_atomic_add_f32 v6, v198, s[8:9] offset:264          // 00000000A80C: DD348108 0008C606
	s_mov_b64 exec, s[36:37]                                   // 00000000A814: BEFE0124
	v_mov_b32_e32 v6, v75                                      // 00000000A818: 7E0C034B
	s_mov_b64 s[60:61], 0                                      // 00000000A81C: BEBC0180
	v_readlane_b32 s82, v3, 26                                 // 00000000A820: D2890052 00013503
	s_and_b32 s82, s82, 0xffffff                               // 00000000A828: 8652FF52 00FFFFFF
	s_cmp_lt_u32 s82, s66                                      // 00000000A830: BF0A4252
	s_cselect_b32 s20, s36, s60                                // 00000000A834: 85143C24
	v_readlane_b32 s82, v3, 27                                 // 00000000A838: D2890052 00013703
	s_and_b32 s82, s82, 0xffffff                               // 00000000A840: 8652FF52 00FFFFFF
	s_cmp_lt_u32 s82, s66                                      // 00000000A848: BF0A4252
	s_cselect_b32 s21, s36, s60                                // 00000000A84C: 85153C24
	s_mov_b64 exec, s[20:21]                                   // 00000000A850: BEFE0114
	global_atomic_add_f32 v6, v195, s[8:9] offset:8            // 00000000A854: DD348008 0008C306
	global_atomic_add_f32 v6, v199, s[8:9] offset:264          // 00000000A85C: DD348108 0008C706
	s_mov_b64 exec, s[36:37]                                   // 00000000A864: BEFE0124
	v_mov_b32_e32 v6, v76                                      // 00000000A868: 7E0C034C
	s_mov_b64 s[60:61], 0                                      // 00000000A86C: BEBC0180
	v_readlane_b32 s82, v3, 28                                 // 00000000A870: D2890052 00013903
	s_and_b32 s82, s82, 0xffffff                               // 00000000A878: 8652FF52 00FFFFFF
	s_cmp_lt_u32 s82, s66                                      // 00000000A880: BF0A4252
	s_cselect_b32 s20, s36, s60                                // 00000000A884: 85143C24
	v_readlane_b32 s82, v3, 29                                 // 00000000A888: D2890052 00013B03
	s_and_b32 s82, s82, 0xffffff                               // 00000000A890: 8652FF52 00FFFFFF
	s_cmp_lt_u32 s82, s66                                      // 00000000A898: BF0A4252
	s_cselect_b32 s21, s36, s60                                // 00000000A89C: 85153C24
	s_mov_b64 exec, s[20:21]                                   // 00000000A8A0: BEFE0114
	global_atomic_add_f32 v6, v202, s[8:9] offset:8            // 00000000A8A4: DD348008 0008CA06
	global_atomic_add_f32 v6, v206, s[8:9] offset:264          // 00000000A8AC: DD348108 0008CE06
	s_mov_b64 exec, s[36:37]                                   // 00000000A8B4: BEFE0124
	v_mov_b32_e32 v6, v77                                      // 00000000A8B8: 7E0C034D
	s_mov_b64 s[60:61], 0                                      // 00000000A8BC: BEBC0180
	v_readlane_b32 s82, v3, 30                                 // 00000000A8C0: D2890052 00013D03
	s_and_b32 s82, s82, 0xffffff                               // 00000000A8C8: 8652FF52 00FFFFFF
	s_cmp_lt_u32 s82, s66                                      // 00000000A8D0: BF0A4252
	s_cselect_b32 s20, s36, s60                                // 00000000A8D4: 85143C24
	v_readlane_b32 s82, v3, 31                                 // 00000000A8D8: D2890052 00013F03
	s_and_b32 s82, s82, 0xffffff                               // 00000000A8E0: 8652FF52 00FFFFFF
	s_cmp_lt_u32 s82, s66                                      // 00000000A8E8: BF0A4252
	s_cselect_b32 s21, s36, s60                                // 00000000A8EC: 85153C24
	s_mov_b64 exec, s[20:21]                                   // 00000000A8F0: BEFE0114
	global_atomic_add_f32 v6, v203, s[8:9] offset:8            // 00000000A8F4: DD348008 0008CB06
	global_atomic_add_f32 v6, v207, s[8:9] offset:264          // 00000000A8FC: DD348108 0008CF06
	s_mov_b64 exec, s[36:37]                                   // 00000000A904: BEFE0124
	s_branch label_3BEE                                        // 00000000A908: BF821C28

000000000000a90c <label_1FC6>:
	s_waitcnt vmcnt(20) lgkmcnt(0)                             // 00000000A90C: BF8C4074
	v_mfma_f32_16x16x32_fp8_fp8 v[80:83], a[128:129], a[0:1], v[80:83]// 00000000A910: D3F30050 1D420180
	buffer_load_dwordx4 a[160:163], v78, s[24:27], 0 offen     // 00000000A918: E05C1000 8086A04E
	v_mfma_f32_16x16x32_fp8_fp8 v[80:83], a[130:131], a[2:3], v[80:83]// 00000000A920: D3F30050 1D420582
	v_mfma_f32_16x16x32_fp8_fp8 v[80:83], a[132:133], a[4:5], v[80:83]// 00000000A928: D3F30050 1D420984
	v_mfma_f32_16x16x32_fp8_fp8 v[80:83], a[134:135], a[6:7], v[80:83]// 00000000A930: D3F30050 1D420D86
	v_mfma_f32_16x16x32_fp8_fp8 v[112:115], a[136:137], a[0:1], v[112:115]// 00000000A938: D3F30070 1DC20188
	buffer_load_dwordx4 a[164:167], v78, s[24:27], 0 offen offset:1024// 00000000A940: E05C1400 8086A44E
	v_mfma_f32_16x16x32_fp8_fp8 v[112:115], a[138:139], a[2:3], v[112:115]// 00000000A948: D3F30070 1DC2058A
	v_mfma_f32_16x16x32_fp8_fp8 v[112:115], a[140:141], a[4:5], v[112:115]// 00000000A950: D3F30070 1DC2098C
	v_mfma_f32_16x16x32_fp8_fp8 v[112:115], a[142:143], a[6:7], v[112:115]// 00000000A958: D3F30070 1DC20D8E
	v_mfma_f32_16x16x32_fp8_fp8 v[84:87], a[128:129], a[8:9], v[84:87]// 00000000A960: D3F30054 1D521180
	buffer_load_dwordx4 a[168:171], v79, s[24:27], 0 offen     // 00000000A968: E05C1000 8086A84F
	v_mfma_f32_16x16x32_fp8_fp8 v[84:87], a[130:131], a[10:11], v[84:87]// 00000000A970: D3F30054 1D521582
	v_mfma_f32_16x16x32_fp8_fp8 v[84:87], a[132:133], a[12:13], v[84:87]// 00000000A978: D3F30054 1D521984
	v_mfma_f32_16x16x32_fp8_fp8 v[84:87], a[134:135], a[14:15], v[84:87]// 00000000A980: D3F30054 1D521D86
	v_mfma_f32_16x16x32_fp8_fp8 v[116:119], a[136:137], a[8:9], v[116:119]// 00000000A988: D3F30074 1DD21188
	buffer_load_dwordx4 a[172:175], v79, s[24:27], 0 offen offset:1024// 00000000A990: E05C1400 8086AC4F
	buffer_load_dword v62, s[20:23], 0 offen lds               // 00000000A998: E0511000 8005003E
	s_add_u32 m0, 0x100, s50                                   // 00000000A9A0: 807C32FF 00000100
	v_mfma_f32_16x16x32_fp8_fp8 v[116:119], a[138:139], a[10:11], v[116:119]// 00000000A9A8: D3F30074 1DD2158A
	v_mfma_f32_16x16x32_fp8_fp8 v[116:119], a[140:141], a[12:13], v[116:119]// 00000000A9B0: D3F30074 1DD2198C
	buffer_load_dword v63, s[20:23], 0 offen lds               // 00000000A9B8: E0511000 8005003F
	s_add_u32 m0, 0x200, s50                                   // 00000000A9C0: 807C32FF 00000200
	v_mfma_f32_16x16x32_fp8_fp8 v[116:119], a[142:143], a[14:15], v[116:119]// 00000000A9C8: D3F30074 1DD21D8E
	v_mfma_f32_16x16x32_fp8_fp8 v[88:91], a[128:129], a[16:17], v[88:91]// 00000000A9D0: D3F30058 1D622180
	buffer_load_dword v64, s[20:23], 0 offen lds               // 00000000A9D8: E0511000 80050040
	s_add_u32 m0, 0x300, s50                                   // 00000000A9E0: 807C32FF 00000300
	v_mfma_f32_16x16x32_fp8_fp8 v[88:91], a[130:131], a[18:19], v[88:91]// 00000000A9E8: D3F30058 1D622582
	v_mfma_f32_16x16x32_fp8_fp8 v[88:91], a[132:133], a[20:21], v[88:91]// 00000000A9F0: D3F30058 1D622984
	buffer_load_dword v65, s[20:23], 0 offen lds               // 00000000A9F8: E0511000 80050041
	s_add_u32 m0, 0x400, s50                                   // 00000000AA00: 807C32FF 00000400
	v_mfma_f32_16x16x32_fp8_fp8 v[88:91], a[134:135], a[22:23], v[88:91]// 00000000AA08: D3F30058 1D622D86
	v_mfma_f32_16x16x32_fp8_fp8 v[120:123], a[136:137], a[16:17], v[120:123]// 00000000AA10: D3F30078 1DE22188
	buffer_load_dword v66, s[20:23], 0 offen lds               // 00000000AA18: E0511000 80050042
	s_add_u32 m0, 0x500, s50                                   // 00000000AA20: 807C32FF 00000500
	v_mfma_f32_16x16x32_fp8_fp8 v[120:123], a[138:139], a[18:19], v[120:123]// 00000000AA28: D3F30078 1DE2258A
	v_mfma_f32_16x16x32_fp8_fp8 v[120:123], a[140:141], a[20:21], v[120:123]// 00000000AA30: D3F30078 1DE2298C
	buffer_load_dword v67, s[20:23], 0 offen lds               // 00000000AA38: E0511000 80050043
	s_add_u32 m0, 0x600, s50                                   // 00000000AA40: 807C32FF 00000600
	v_mfma_f32_16x16x32_fp8_fp8 v[120:123], a[142:143], a[22:23], v[120:123]// 00000000AA48: D3F30078 1DE22D8E
	v_mfma_f32_16x16x32_fp8_fp8 v[92:95], a[128:129], a[24:25], v[92:95]// 00000000AA50: D3F3005C 1D723180
	buffer_load_dword v68, s[20:23], 0 offen lds               // 00000000AA58: E0511000 80050044
	s_add_u32 m0, 0x700, s50                                   // 00000000AA60: 807C32FF 00000700
	v_mfma_f32_16x16x32_fp8_fp8 v[92:95], a[130:131], a[26:27], v[92:95]// 00000000AA68: D3F3005C 1D723582
	v_mfma_f32_16x16x32_fp8_fp8 v[92:95], a[132:133], a[28:29], v[92:95]// 00000000AA70: D3F3005C 1D723984
	buffer_load_dword v69, s[20:23], 0 offen lds               // 00000000AA78: E0511000 80050045
	s_add_u32 m0, 0x800, s50                                   // 00000000AA80: 807C32FF 00000800
	v_mfma_f32_16x16x32_fp8_fp8 v[92:95], a[134:135], a[30:31], v[92:95]// 00000000AA88: D3F3005C 1D723D86
	v_mfma_f32_16x16x32_fp8_fp8 v[124:127], a[136:137], a[24:25], v[124:127]// 00000000AA90: D3F3007C 1DF23188
	buffer_load_dword v70, s[20:23], 0 offen lds               // 00000000AA98: E0511000 80050046
	s_add_u32 m0, 0x900, s50                                   // 00000000AAA0: 807C32FF 00000900
	v_mfma_f32_16x16x32_fp8_fp8 v[124:127], a[138:139], a[26:27], v[124:127]// 00000000AAA8: D3F3007C 1DF2358A
	v_mfma_f32_16x16x32_fp8_fp8 v[124:127], a[140:141], a[28:29], v[124:127]// 00000000AAB0: D3F3007C 1DF2398C
	buffer_load_dword v71, s[20:23], 0 offen lds               // 00000000AAB8: E0511000 80050047
	s_add_u32 m0, 0xa00, s50                                   // 00000000AAC0: 807C32FF 00000A00
	v_mfma_f32_16x16x32_fp8_fp8 v[124:127], a[142:143], a[30:31], v[124:127]// 00000000AAC8: D3F3007C 1DF23D8E
	v_mfma_f32_16x16x32_fp8_fp8 v[96:99], a[128:129], a[32:33], v[96:99]// 00000000AAD0: D3F30060 1D824180
	v_mfma_f32_16x16x32_fp8_fp8 v[96:99], a[130:131], a[34:35], v[96:99]// 00000000AAD8: D3F30060 1D824582
	v_mfma_f32_16x16x32_fp8_fp8 v[96:99], a[132:133], a[36:37], v[96:99]// 00000000AAE0: D3F30060 1D824984
	v_mfma_f32_16x16x32_fp8_fp8 v[96:99], a[134:135], a[38:39], v[96:99]// 00000000AAE8: D3F30060 1D824D86
	v_mfma_f32_16x16x32_fp8_fp8 v[128:131], a[136:137], a[32:33], v[128:131]// 00000000AAF0: D3F30080 1E024188
	v_mfma_f32_16x16x32_fp8_fp8 v[128:131], a[138:139], a[34:35], v[128:131]// 00000000AAF8: D3F30080 1E02458A
	v_mfma_f32_16x16x32_fp8_fp8 v[128:131], a[140:141], a[36:37], v[128:131]// 00000000AB00: D3F30080 1E02498C
	v_mfma_f32_16x16x32_fp8_fp8 v[128:131], a[142:143], a[38:39], v[128:131]// 00000000AB08: D3F30080 1E024D8E
	v_mfma_f32_16x16x32_fp8_fp8 v[100:103], a[128:129], a[40:41], v[100:103]// 00000000AB10: D3F30064 1D925180
	buffer_load_dword v72, s[20:23], 0 offen lds               // 00000000AB18: E0511000 80050048
	s_add_u32 m0, 0xb00, s50                                   // 00000000AB20: 807C32FF 00000B00
	v_mfma_f32_16x16x32_fp8_fp8 v[100:103], a[130:131], a[42:43], v[100:103]// 00000000AB28: D3F30064 1D925582
	v_mfma_f32_16x16x32_fp8_fp8 v[100:103], a[132:133], a[44:45], v[100:103]// 00000000AB30: D3F30064 1D925984
	buffer_load_dword v73, s[20:23], 0 offen lds               // 00000000AB38: E0511000 80050049
	s_add_u32 m0, 0xc00, s50                                   // 00000000AB40: 807C32FF 00000C00
	v_mfma_f32_16x16x32_fp8_fp8 v[100:103], a[134:135], a[46:47], v[100:103]// 00000000AB48: D3F30064 1D925D86
	v_mfma_f32_16x16x32_fp8_fp8 v[132:135], a[136:137], a[40:41], v[132:135]// 00000000AB50: D3F30084 1E125188
	buffer_load_dword v74, s[20:23], 0 offen lds               // 00000000AB58: E0511000 8005004A
	s_add_u32 m0, 0xd00, s50                                   // 00000000AB60: 807C32FF 00000D00
	v_mfma_f32_16x16x32_fp8_fp8 v[132:135], a[138:139], a[42:43], v[132:135]// 00000000AB68: D3F30084 1E12558A
	v_mfma_f32_16x16x32_fp8_fp8 v[132:135], a[140:141], a[44:45], v[132:135]// 00000000AB70: D3F30084 1E12598C
	buffer_load_dword v75, s[20:23], 0 offen lds               // 00000000AB78: E0511000 8005004B
	s_add_u32 m0, 0xe00, s50                                   // 00000000AB80: 807C32FF 00000E00
	v_mfma_f32_16x16x32_fp8_fp8 v[132:135], a[142:143], a[46:47], v[132:135]// 00000000AB88: D3F30084 1E125D8E
	v_mfma_f32_16x16x32_fp8_fp8 v[104:107], a[128:129], a[48:49], v[104:107]// 00000000AB90: D3F30068 1DA26180
	v_mfma_f32_16x16x32_fp8_fp8 v[104:107], a[130:131], a[50:51], v[104:107]// 00000000AB98: D3F30068 1DA26582
	v_mfma_f32_16x16x32_fp8_fp8 v[104:107], a[132:133], a[52:53], v[104:107]// 00000000ABA0: D3F30068 1DA26984
	v_mfma_f32_16x16x32_fp8_fp8 v[104:107], a[134:135], a[54:55], v[104:107]// 00000000ABA8: D3F30068 1DA26D86
	v_mfma_f32_16x16x32_fp8_fp8 v[136:139], a[136:137], a[48:49], v[136:139]// 00000000ABB0: D3F30088 1E226188
	v_mfma_f32_16x16x32_fp8_fp8 v[136:139], a[138:139], a[50:51], v[136:139]// 00000000ABB8: D3F30088 1E22658A
	v_mfma_f32_16x16x32_fp8_fp8 v[136:139], a[140:141], a[52:53], v[136:139]// 00000000ABC0: D3F30088 1E22698C
	v_mfma_f32_16x16x32_fp8_fp8 v[136:139], a[142:143], a[54:55], v[136:139]// 00000000ABC8: D3F30088 1E226D8E
	v_mfma_f32_16x16x32_fp8_fp8 v[108:111], a[128:129], a[56:57], v[108:111]// 00000000ABD0: D3F3006C 1DB27180
	buffer_load_dword v76, s[20:23], 0 offen lds               // 00000000ABD8: E0511000 8005004C
	s_add_u32 m0, 0xf00, s50                                   // 00000000ABE0: 807C32FF 00000F00
	v_mfma_f32_16x16x32_fp8_fp8 v[108:111], a[130:131], a[58:59], v[108:111]// 00000000ABE8: D3F3006C 1DB27582
	v_mfma_f32_16x16x32_fp8_fp8 v[108:111], a[132:133], a[60:61], v[108:111]// 00000000ABF0: D3F3006C 1DB27984
	buffer_load_dword v77, s[20:23], 0 offen lds               // 00000000ABF8: E0511000 8005004D
	s_add_u32 m0, 0, s48                                       // 00000000AC00: 807C3080
	v_mfma_f32_16x16x32_fp8_fp8 v[108:111], a[134:135], a[62:63], v[108:111]// 00000000AC04: D3F3006C 1DB27D86
	v_mfma_f32_16x16x32_fp8_fp8 v[140:143], a[136:137], a[56:57], v[140:143]// 00000000AC0C: D3F3008C 1E327188
	v_mfma_f32_16x16x32_fp8_fp8 v[140:143], a[138:139], a[58:59], v[140:143]// 00000000AC14: D3F3008C 1E32758A
	v_mfma_f32_16x16x32_fp8_fp8 v[140:143], a[140:141], a[60:61], v[140:143]// 00000000AC1C: D3F3008C 1E32798C
	v_mfma_f32_16x16x32_fp8_fp8 v[140:143], a[142:143], a[62:63], v[140:143]// 00000000AC24: D3F3008C 1E327D8E
	s_waitcnt vmcnt(20)                                        // 00000000AC2C: BF8C4F74
	s_barrier                                                  // 00000000AC30: BF8A0000
	v_mfma_f32_16x16x32_fp8_fp8 v[144:147], a[144:145], a[0:1], v[144:147]// 00000000AC34: D3F30090 1E420190
	buffer_load_dwordx4 a[128:131], v78, s[84:87], 0 offen     // 00000000AC3C: E05C1000 8095804E
	v_mfma_f32_16x16x32_fp8_fp8 v[144:147], a[146:147], a[2:3], v[144:147]// 00000000AC44: D3F30090 1E420592
	v_mfma_f32_16x16x32_fp8_fp8 v[144:147], a[148:149], a[4:5], v[144:147]// 00000000AC4C: D3F30090 1E420994
	ds_read_b128 a[64:67], v2 offset:16512                     // 00000000AC54: DBFE4080 40000002
	ds_read_b128 a[68:71], v2 offset:16576                     // 00000000AC5C: DBFE40C0 44000002
	v_mfma_f32_16x16x32_fp8_fp8 v[144:147], a[150:151], a[6:7], v[144:147]// 00000000AC64: D3F30090 1E420D96
	v_mfma_f32_16x16x32_fp8_fp8 v[176:179], a[152:153], a[0:1], v[176:179]// 00000000AC6C: D3F300B0 1EC20198
	buffer_load_dwordx4 a[132:135], v78, s[84:87], 0 offen offset:1024// 00000000AC74: E05C1400 8095844E
	v_mfma_f32_16x16x32_fp8_fp8 v[176:179], a[154:155], a[2:3], v[176:179]// 00000000AC7C: D3F300B0 1EC2059A
	v_mfma_f32_16x16x32_fp8_fp8 v[176:179], a[156:157], a[4:5], v[176:179]// 00000000AC84: D3F300B0 1EC2099C
	ds_read_b128 a[72:75], v2 offset:17024                     // 00000000AC8C: DBFE4280 48000002
	ds_read_b128 a[76:79], v2 offset:17088                     // 00000000AC94: DBFE42C0 4C000002
	v_mfma_f32_16x16x32_fp8_fp8 v[176:179], a[158:159], a[6:7], v[176:179]// 00000000AC9C: D3F300B0 1EC20D9E
	v_mfma_f32_16x16x32_fp8_fp8 v[148:151], a[144:145], a[8:9], v[148:151]// 00000000ACA4: D3F30094 1E521190
	buffer_load_dwordx4 a[136:139], v79, s[84:87], 0 offen     // 00000000ACAC: E05C1000 8095884F
	v_mfma_f32_16x16x32_fp8_fp8 v[148:151], a[146:147], a[10:11], v[148:151]// 00000000ACB4: D3F30094 1E521592
	v_mfma_f32_16x16x32_fp8_fp8 v[148:151], a[148:149], a[12:13], v[148:151]// 00000000ACBC: D3F30094 1E521994
	ds_read_b128 a[80:83], v2 offset:17536                     // 00000000ACC4: DBFE4480 50000002
	ds_read_b128 a[84:87], v2 offset:17600                     // 00000000ACCC: DBFE44C0 54000002
	v_mfma_f32_16x16x32_fp8_fp8 v[148:151], a[150:151], a[14:15], v[148:151]// 00000000ACD4: D3F30094 1E521D96
	v_mfma_f32_16x16x32_fp8_fp8 v[180:183], a[152:153], a[8:9], v[180:183]// 00000000ACDC: D3F300B4 1ED21198
	buffer_load_dwordx4 a[140:143], v79, s[84:87], 0 offen offset:1024// 00000000ACE4: E05C1400 80958C4F
	v_mfma_f32_16x16x32_fp8_fp8 v[180:183], a[154:155], a[10:11], v[180:183]// 00000000ACEC: D3F300B4 1ED2159A
	v_mfma_f32_16x16x32_fp8_fp8 v[180:183], a[156:157], a[12:13], v[180:183]// 00000000ACF4: D3F300B4 1ED2199C
	ds_read_b128 a[88:91], v2 offset:18048                     // 00000000ACFC: DBFE4680 58000002
	ds_read_b128 a[92:95], v2 offset:18112                     // 00000000AD04: DBFE46C0 5C000002
	v_mfma_f32_16x16x32_fp8_fp8 v[180:183], a[158:159], a[14:15], v[180:183]// 00000000AD0C: D3F300B4 1ED21D9E
	v_mfma_f32_16x16x32_fp8_fp8 v[152:155], a[144:145], a[16:17], v[152:155]// 00000000AD14: D3F30098 1E622190
	v_mfma_f32_16x16x32_fp8_fp8 v[152:155], a[146:147], a[18:19], v[152:155]// 00000000AD1C: D3F30098 1E622592
	v_mfma_f32_16x16x32_fp8_fp8 v[152:155], a[148:149], a[20:21], v[152:155]// 00000000AD24: D3F30098 1E622994
	ds_read_b128 a[96:99], v2 offset:18560                     // 00000000AD2C: DBFE4880 60000002
	ds_read_b128 a[100:103], v2 offset:18624                   // 00000000AD34: DBFE48C0 64000002
	v_mfma_f32_16x16x32_fp8_fp8 v[152:155], a[150:151], a[22:23], v[152:155]// 00000000AD3C: D3F30098 1E622D96
	v_mfma_f32_16x16x32_fp8_fp8 v[184:187], a[152:153], a[16:17], v[184:187]// 00000000AD44: D3F300B8 1EE22198
	v_mfma_f32_16x16x32_fp8_fp8 v[184:187], a[154:155], a[18:19], v[184:187]// 00000000AD4C: D3F300B8 1EE2259A
	v_mfma_f32_16x16x32_fp8_fp8 v[184:187], a[156:157], a[20:21], v[184:187]// 00000000AD54: D3F300B8 1EE2299C
	ds_read_b128 a[104:107], v2 offset:19072                   // 00000000AD5C: DBFE4A80 68000002
	ds_read_b128 a[108:111], v2 offset:19136                   // 00000000AD64: DBFE4AC0 6C000002
	v_mfma_f32_16x16x32_fp8_fp8 v[184:187], a[158:159], a[22:23], v[184:187]// 00000000AD6C: D3F300B8 1EE22D9E
	v_mfma_f32_16x16x32_fp8_fp8 v[156:159], a[144:145], a[24:25], v[156:159]// 00000000AD74: D3F3009C 1E723190
	v_mfma_f32_16x16x32_fp8_fp8 v[156:159], a[146:147], a[26:27], v[156:159]// 00000000AD7C: D3F3009C 1E723592
	v_mfma_f32_16x16x32_fp8_fp8 v[156:159], a[148:149], a[28:29], v[156:159]// 00000000AD84: D3F3009C 1E723994
	ds_read_b128 a[112:115], v2 offset:19584                   // 00000000AD8C: DBFE4C80 70000002
	ds_read_b128 a[116:119], v2 offset:19648                   // 00000000AD94: DBFE4CC0 74000002
	v_mfma_f32_16x16x32_fp8_fp8 v[156:159], a[150:151], a[30:31], v[156:159]// 00000000AD9C: D3F3009C 1E723D96
	v_mfma_f32_16x16x32_fp8_fp8 v[188:191], a[152:153], a[24:25], v[188:191]// 00000000ADA4: D3F300BC 1EF23198
	v_mfma_f32_16x16x32_fp8_fp8 v[188:191], a[154:155], a[26:27], v[188:191]// 00000000ADAC: D3F300BC 1EF2359A
	v_mfma_f32_16x16x32_fp8_fp8 v[188:191], a[156:157], a[28:29], v[188:191]// 00000000ADB4: D3F300BC 1EF2399C
	ds_read_b128 a[120:123], v2 offset:20096                   // 00000000ADBC: DBFE4E80 78000002
	ds_read_b128 a[124:127], v2 offset:20160                   // 00000000ADC4: DBFE4EC0 7C000002
	v_mfma_f32_16x16x32_fp8_fp8 v[188:191], a[158:159], a[30:31], v[188:191]// 00000000ADCC: D3F300BC 1EF23D9E
	v_mfma_f32_16x16x32_fp8_fp8 v[160:163], a[144:145], a[32:33], v[160:163]// 00000000ADD4: D3F300A0 1E824190
	v_mfma_f32_16x16x32_fp8_fp8 v[160:163], a[146:147], a[34:35], v[160:163]// 00000000ADDC: D3F300A0 1E824592
	v_mfma_f32_16x16x32_fp8_fp8 v[160:163], a[148:149], a[36:37], v[160:163]// 00000000ADE4: D3F300A0 1E824994
	v_mfma_f32_16x16x32_fp8_fp8 v[160:163], a[150:151], a[38:39], v[160:163]// 00000000ADEC: D3F300A0 1E824D96
	v_mfma_f32_16x16x32_fp8_fp8 v[192:195], a[152:153], a[32:33], v[192:195]// 00000000ADF4: D3F300C0 1F024198
	v_mfma_f32_16x16x32_fp8_fp8 v[192:195], a[154:155], a[34:35], v[192:195]// 00000000ADFC: D3F300C0 1F02459A
	v_mfma_f32_16x16x32_fp8_fp8 v[192:195], a[156:157], a[36:37], v[192:195]// 00000000AE04: D3F300C0 1F02499C
	v_mfma_f32_16x16x32_fp8_fp8 v[192:195], a[158:159], a[38:39], v[192:195]// 00000000AE0C: D3F300C0 1F024D9E
	v_mfma_f32_16x16x32_fp8_fp8 v[164:167], a[144:145], a[40:41], v[164:167]// 00000000AE14: D3F300A4 1E925190
	v_mfma_f32_16x16x32_fp8_fp8 v[164:167], a[146:147], a[42:43], v[164:167]// 00000000AE1C: D3F300A4 1E925592
	v_mfma_f32_16x16x32_fp8_fp8 v[164:167], a[148:149], a[44:45], v[164:167]// 00000000AE24: D3F300A4 1E925994
	v_mfma_f32_16x16x32_fp8_fp8 v[164:167], a[150:151], a[46:47], v[164:167]// 00000000AE2C: D3F300A4 1E925D96
	v_mfma_f32_16x16x32_fp8_fp8 v[196:199], a[152:153], a[40:41], v[196:199]// 00000000AE34: D3F300C4 1F125198
	v_mfma_f32_16x16x32_fp8_fp8 v[196:199], a[154:155], a[42:43], v[196:199]// 00000000AE3C: D3F300C4 1F12559A
	v_mfma_f32_16x16x32_fp8_fp8 v[196:199], a[156:157], a[44:45], v[196:199]// 00000000AE44: D3F300C4 1F12599C
	v_mfma_f32_16x16x32_fp8_fp8 v[196:199], a[158:159], a[46:47], v[196:199]// 00000000AE4C: D3F300C4 1F125D9E
	v_mfma_f32_16x16x32_fp8_fp8 v[168:171], a[144:145], a[48:49], v[168:171]// 00000000AE54: D3F300A8 1EA26190
	v_mfma_f32_16x16x32_fp8_fp8 v[168:171], a[146:147], a[50:51], v[168:171]// 00000000AE5C: D3F300A8 1EA26592
	v_mfma_f32_16x16x32_fp8_fp8 v[168:171], a[148:149], a[52:53], v[168:171]// 00000000AE64: D3F300A8 1EA26994
	v_mfma_f32_16x16x32_fp8_fp8 v[168:171], a[150:151], a[54:55], v[168:171]// 00000000AE6C: D3F300A8 1EA26D96
	v_mfma_f32_16x16x32_fp8_fp8 v[200:203], a[152:153], a[48:49], v[200:203]// 00000000AE74: D3F300C8 1F226198
	v_mfma_f32_16x16x32_fp8_fp8 v[200:203], a[154:155], a[50:51], v[200:203]// 00000000AE7C: D3F300C8 1F22659A
	v_mfma_f32_16x16x32_fp8_fp8 v[200:203], a[156:157], a[52:53], v[200:203]// 00000000AE84: D3F300C8 1F22699C
	v_mfma_f32_16x16x32_fp8_fp8 v[200:203], a[158:159], a[54:55], v[200:203]// 00000000AE8C: D3F300C8 1F226D9E
	v_mfma_f32_16x16x32_fp8_fp8 v[172:175], a[144:145], a[56:57], v[172:175]// 00000000AE94: D3F300AC 1EB27190
	s_add_u32 s60, 0x180, s80                                  // 00000000AE9C: 803C50FF 00000180
	s_cmp_lt_u32 s60, s81                                      // 00000000AEA4: BF0A513C
	s_cselect_b32 s57, s57, 0                                  // 00000000AEA8: 85398039
	v_mfma_f32_16x16x32_fp8_fp8 v[172:175], a[146:147], a[58:59], v[172:175]// 00000000AEAC: D3F300AC 1EB27592
	s_add_u32 s60, 0x100, s80                                  // 00000000AEB4: 803C50FF 00000100
	s_cmp_lt_u32 s60, s81                                      // 00000000AEBC: BF0A513C
	s_cselect_b32 s58, s58, 0                                  // 00000000AEC0: 853A803A
	v_mfma_f32_16x16x32_fp8_fp8 v[172:175], a[148:149], a[60:61], v[172:175]// 00000000AEC4: D3F300AC 1EB27994
	s_add_u32 s60, 0x100, s80                                  // 00000000AECC: 803C50FF 00000100
	s_cmp_lt_u32 s60, s81                                      // 00000000AED4: BF0A513C
	s_cselect_b32 s83, s83, 0                                  // 00000000AED8: 85538053
	v_mfma_f32_16x16x32_fp8_fp8 v[172:175], a[150:151], a[62:63], v[172:175]// 00000000AEDC: D3F300AC 1EB27D96
	s_add_u32 s24, s58, s24                                    // 00000000AEE4: 8018183A
	s_addc_u32 s25, 0, s25                                     // 00000000AEE8: 82191980
	v_mfma_f32_16x16x32_fp8_fp8 v[204:207], a[152:153], a[56:57], v[204:207]// 00000000AEEC: D3F300CC 1F327198
	s_add_u32 s20, s57, s20                                    // 00000000AEF4: 80141439
	s_addc_u32 s21, 0, s21                                     // 00000000AEF8: 82151580
	v_mfma_f32_16x16x32_fp8_fp8 v[204:207], a[154:155], a[58:59], v[204:207]// 00000000AEFC: D3F300CC 1F32759A
	s_add_u32 s84, s83, s84                                    // 00000000AF04: 80545453
	s_addc_u32 s85, 0, s85                                     // 00000000AF08: 82555580
	v_mfma_f32_16x16x32_fp8_fp8 v[204:207], a[156:157], a[60:61], v[204:207]// 00000000AF0C: D3F300CC 1F32799C
	v_mfma_f32_16x16x32_fp8_fp8 v[204:207], a[158:159], a[62:63], v[204:207]// 00000000AF14: D3F300CC 1F327D9E
	s_addk_i32 s80, 0x80                                       // 00000000AF1C: B7500080
	s_cmp_lt_i32 s80, s81                                      // 00000000AF20: BF045150
	s_cbranch_scc0 label_28F1                                  // 00000000AF24: BF8407A4
	s_waitcnt vmcnt(20) lgkmcnt(0)                             // 00000000AF28: BF8C4074
	v_mfma_f32_16x16x32_fp8_fp8 v[80:83], a[160:161], a[64:65], v[80:83]// 00000000AF2C: D3F30050 1D4281A0
	buffer_load_dwordx4 a[144:147], v78, s[24:27], 0 offen     // 00000000AF34: E05C1000 8086904E
	v_mfma_f32_16x16x32_fp8_fp8 v[80:83], a[162:163], a[66:67], v[80:83]// 00000000AF3C: D3F30050 1D4285A2
	v_mfma_f32_16x16x32_fp8_fp8 v[80:83], a[164:165], a[68:69], v[80:83]// 00000000AF44: D3F30050 1D4289A4
	v_mfma_f32_16x16x32_fp8_fp8 v[80:83], a[166:167], a[70:71], v[80:83]// 00000000AF4C: D3F30050 1D428DA6
	v_mfma_f32_16x16x32_fp8_fp8 v[112:115], a[168:169], a[64:65], v[112:115]// 00000000AF54: D3F30070 1DC281A8
	buffer_load_dwordx4 a[148:151], v78, s[24:27], 0 offen offset:1024// 00000000AF5C: E05C1400 8086944E
	v_mfma_f32_16x16x32_fp8_fp8 v[112:115], a[170:171], a[66:67], v[112:115]// 00000000AF64: D3F30070 1DC285AA
	v_mfma_f32_16x16x32_fp8_fp8 v[112:115], a[172:173], a[68:69], v[112:115]// 00000000AF6C: D3F30070 1DC289AC
	v_mfma_f32_16x16x32_fp8_fp8 v[112:115], a[174:175], a[70:71], v[112:115]// 00000000AF74: D3F30070 1DC28DAE
	v_mfma_f32_16x16x32_fp8_fp8 v[84:87], a[160:161], a[72:73], v[84:87]// 00000000AF7C: D3F30054 1D5291A0
	buffer_load_dwordx4 a[152:155], v79, s[24:27], 0 offen     // 00000000AF84: E05C1000 8086984F
	v_mfma_f32_16x16x32_fp8_fp8 v[84:87], a[162:163], a[74:75], v[84:87]// 00000000AF8C: D3F30054 1D5295A2
	v_mfma_f32_16x16x32_fp8_fp8 v[84:87], a[164:165], a[76:77], v[84:87]// 00000000AF94: D3F30054 1D5299A4
	v_mfma_f32_16x16x32_fp8_fp8 v[84:87], a[166:167], a[78:79], v[84:87]// 00000000AF9C: D3F30054 1D529DA6
	v_mfma_f32_16x16x32_fp8_fp8 v[116:119], a[168:169], a[72:73], v[116:119]// 00000000AFA4: D3F30074 1DD291A8
	buffer_load_dwordx4 a[156:159], v79, s[24:27], 0 offen offset:1024// 00000000AFAC: E05C1400 80869C4F
	buffer_load_dword v62, s[20:23], 0 offen lds               // 00000000AFB4: E0511000 8005003E
	s_add_u32 m0, 0x100, s48                                   // 00000000AFBC: 807C30FF 00000100
	v_mfma_f32_16x16x32_fp8_fp8 v[116:119], a[170:171], a[74:75], v[116:119]// 00000000AFC4: D3F30074 1DD295AA
	v_mfma_f32_16x16x32_fp8_fp8 v[116:119], a[172:173], a[76:77], v[116:119]// 00000000AFCC: D3F30074 1DD299AC
	buffer_load_dword v63, s[20:23], 0 offen lds               // 00000000AFD4: E0511000 8005003F
	s_add_u32 m0, 0x200, s48                                   // 00000000AFDC: 807C30FF 00000200
	v_mfma_f32_16x16x32_fp8_fp8 v[116:119], a[174:175], a[78:79], v[116:119]// 00000000AFE4: D3F30074 1DD29DAE
	v_mfma_f32_16x16x32_fp8_fp8 v[88:91], a[160:161], a[80:81], v[88:91]// 00000000AFEC: D3F30058 1D62A1A0
	buffer_load_dword v64, s[20:23], 0 offen lds               // 00000000AFF4: E0511000 80050040
	s_add_u32 m0, 0x300, s48                                   // 00000000AFFC: 807C30FF 00000300
	v_mfma_f32_16x16x32_fp8_fp8 v[88:91], a[162:163], a[82:83], v[88:91]// 00000000B004: D3F30058 1D62A5A2
	v_mfma_f32_16x16x32_fp8_fp8 v[88:91], a[164:165], a[84:85], v[88:91]// 00000000B00C: D3F30058 1D62A9A4
	buffer_load_dword v65, s[20:23], 0 offen lds               // 00000000B014: E0511000 80050041
	s_add_u32 m0, 0x400, s48                                   // 00000000B01C: 807C30FF 00000400
	v_mfma_f32_16x16x32_fp8_fp8 v[88:91], a[166:167], a[86:87], v[88:91]// 00000000B024: D3F30058 1D62ADA6
	v_mfma_f32_16x16x32_fp8_fp8 v[120:123], a[168:169], a[80:81], v[120:123]// 00000000B02C: D3F30078 1DE2A1A8
	buffer_load_dword v66, s[20:23], 0 offen lds               // 00000000B034: E0511000 80050042
	s_add_u32 m0, 0x500, s48                                   // 00000000B03C: 807C30FF 00000500
	v_mfma_f32_16x16x32_fp8_fp8 v[120:123], a[170:171], a[82:83], v[120:123]// 00000000B044: D3F30078 1DE2A5AA
	v_mfma_f32_16x16x32_fp8_fp8 v[120:123], a[172:173], a[84:85], v[120:123]// 00000000B04C: D3F30078 1DE2A9AC
	buffer_load_dword v67, s[20:23], 0 offen lds               // 00000000B054: E0511000 80050043
	s_add_u32 m0, 0x600, s48                                   // 00000000B05C: 807C30FF 00000600
	v_mfma_f32_16x16x32_fp8_fp8 v[120:123], a[174:175], a[86:87], v[120:123]// 00000000B064: D3F30078 1DE2ADAE
	v_mfma_f32_16x16x32_fp8_fp8 v[92:95], a[160:161], a[88:89], v[92:95]// 00000000B06C: D3F3005C 1D72B1A0
	buffer_load_dword v68, s[20:23], 0 offen lds               // 00000000B074: E0511000 80050044
	s_add_u32 m0, 0x700, s48                                   // 00000000B07C: 807C30FF 00000700
	v_mfma_f32_16x16x32_fp8_fp8 v[92:95], a[162:163], a[90:91], v[92:95]// 00000000B084: D3F3005C 1D72B5A2
	v_mfma_f32_16x16x32_fp8_fp8 v[92:95], a[164:165], a[92:93], v[92:95]// 00000000B08C: D3F3005C 1D72B9A4
	buffer_load_dword v69, s[20:23], 0 offen lds               // 00000000B094: E0511000 80050045
	s_add_u32 m0, 0x800, s48                                   // 00000000B09C: 807C30FF 00000800
	v_mfma_f32_16x16x32_fp8_fp8 v[92:95], a[166:167], a[94:95], v[92:95]// 00000000B0A4: D3F3005C 1D72BDA6
	v_mfma_f32_16x16x32_fp8_fp8 v[124:127], a[168:169], a[88:89], v[124:127]// 00000000B0AC: D3F3007C 1DF2B1A8
	buffer_load_dword v70, s[20:23], 0 offen lds               // 00000000B0B4: E0511000 80050046
	s_add_u32 m0, 0x900, s48                                   // 00000000B0BC: 807C30FF 00000900
	v_mfma_f32_16x16x32_fp8_fp8 v[124:127], a[170:171], a[90:91], v[124:127]// 00000000B0C4: D3F3007C 1DF2B5AA
	v_mfma_f32_16x16x32_fp8_fp8 v[124:127], a[172:173], a[92:93], v[124:127]// 00000000B0CC: D3F3007C 1DF2B9AC
	buffer_load_dword v71, s[20:23], 0 offen lds               // 00000000B0D4: E0511000 80050047
	s_add_u32 m0, 0xa00, s48                                   // 00000000B0DC: 807C30FF 00000A00
	v_mfma_f32_16x16x32_fp8_fp8 v[124:127], a[174:175], a[94:95], v[124:127]// 00000000B0E4: D3F3007C 1DF2BDAE
	v_mfma_f32_16x16x32_fp8_fp8 v[96:99], a[160:161], a[96:97], v[96:99]// 00000000B0EC: D3F30060 1D82C1A0
	v_mfma_f32_16x16x32_fp8_fp8 v[96:99], a[162:163], a[98:99], v[96:99]// 00000000B0F4: D3F30060 1D82C5A2
	v_mfma_f32_16x16x32_fp8_fp8 v[96:99], a[164:165], a[100:101], v[96:99]// 00000000B0FC: D3F30060 1D82C9A4
	v_mfma_f32_16x16x32_fp8_fp8 v[96:99], a[166:167], a[102:103], v[96:99]// 00000000B104: D3F30060 1D82CDA6
	v_mfma_f32_16x16x32_fp8_fp8 v[128:131], a[168:169], a[96:97], v[128:131]// 00000000B10C: D3F30080 1E02C1A8
	v_mfma_f32_16x16x32_fp8_fp8 v[128:131], a[170:171], a[98:99], v[128:131]// 00000000B114: D3F30080 1E02C5AA
	v_mfma_f32_16x16x32_fp8_fp8 v[128:131], a[172:173], a[100:101], v[128:131]// 00000000B11C: D3F30080 1E02C9AC
	v_mfma_f32_16x16x32_fp8_fp8 v[128:131], a[174:175], a[102:103], v[128:131]// 00000000B124: D3F30080 1E02CDAE
	v_mfma_f32_16x16x32_fp8_fp8 v[100:103], a[160:161], a[104:105], v[100:103]// 00000000B12C: D3F30064 1D92D1A0
	buffer_load_dword v72, s[20:23], 0 offen lds               // 00000000B134: E0511000 80050048
	s_add_u32 m0, 0xb00, s48                                   // 00000000B13C: 807C30FF 00000B00
	v_mfma_f32_16x16x32_fp8_fp8 v[100:103], a[162:163], a[106:107], v[100:103]// 00000000B144: D3F30064 1D92D5A2
	v_mfma_f32_16x16x32_fp8_fp8 v[100:103], a[164:165], a[108:109], v[100:103]// 00000000B14C: D3F30064 1D92D9A4
	buffer_load_dword v73, s[20:23], 0 offen lds               // 00000000B154: E0511000 80050049
	s_add_u32 m0, 0xc00, s48                                   // 00000000B15C: 807C30FF 00000C00
	v_mfma_f32_16x16x32_fp8_fp8 v[100:103], a[166:167], a[110:111], v[100:103]// 00000000B164: D3F30064 1D92DDA6
	v_mfma_f32_16x16x32_fp8_fp8 v[132:135], a[168:169], a[104:105], v[132:135]// 00000000B16C: D3F30084 1E12D1A8
	buffer_load_dword v74, s[20:23], 0 offen lds               // 00000000B174: E0511000 8005004A
	s_add_u32 m0, 0xd00, s48                                   // 00000000B17C: 807C30FF 00000D00
	v_mfma_f32_16x16x32_fp8_fp8 v[132:135], a[170:171], a[106:107], v[132:135]// 00000000B184: D3F30084 1E12D5AA
	v_mfma_f32_16x16x32_fp8_fp8 v[132:135], a[172:173], a[108:109], v[132:135]// 00000000B18C: D3F30084 1E12D9AC
	buffer_load_dword v75, s[20:23], 0 offen lds               // 00000000B194: E0511000 8005004B
	s_add_u32 m0, 0xe00, s48                                   // 00000000B19C: 807C30FF 00000E00
	v_mfma_f32_16x16x32_fp8_fp8 v[132:135], a[174:175], a[110:111], v[132:135]// 00000000B1A4: D3F30084 1E12DDAE
	v_mfma_f32_16x16x32_fp8_fp8 v[104:107], a[160:161], a[112:113], v[104:107]// 00000000B1AC: D3F30068 1DA2E1A0
	v_mfma_f32_16x16x32_fp8_fp8 v[104:107], a[162:163], a[114:115], v[104:107]// 00000000B1B4: D3F30068 1DA2E5A2
	v_mfma_f32_16x16x32_fp8_fp8 v[104:107], a[164:165], a[116:117], v[104:107]// 00000000B1BC: D3F30068 1DA2E9A4
	v_mfma_f32_16x16x32_fp8_fp8 v[104:107], a[166:167], a[118:119], v[104:107]// 00000000B1C4: D3F30068 1DA2EDA6
	v_mfma_f32_16x16x32_fp8_fp8 v[136:139], a[168:169], a[112:113], v[136:139]// 00000000B1CC: D3F30088 1E22E1A8
	v_mfma_f32_16x16x32_fp8_fp8 v[136:139], a[170:171], a[114:115], v[136:139]// 00000000B1D4: D3F30088 1E22E5AA
	v_mfma_f32_16x16x32_fp8_fp8 v[136:139], a[172:173], a[116:117], v[136:139]// 00000000B1DC: D3F30088 1E22E9AC
	v_mfma_f32_16x16x32_fp8_fp8 v[136:139], a[174:175], a[118:119], v[136:139]// 00000000B1E4: D3F30088 1E22EDAE
	v_mfma_f32_16x16x32_fp8_fp8 v[108:111], a[160:161], a[120:121], v[108:111]// 00000000B1EC: D3F3006C 1DB2F1A0
	buffer_load_dword v76, s[20:23], 0 offen lds               // 00000000B1F4: E0511000 8005004C
	s_add_u32 m0, 0xf00, s48                                   // 00000000B1FC: 807C30FF 00000F00
	v_mfma_f32_16x16x32_fp8_fp8 v[108:111], a[162:163], a[122:123], v[108:111]// 00000000B204: D3F3006C 1DB2F5A2
	v_mfma_f32_16x16x32_fp8_fp8 v[108:111], a[164:165], a[124:125], v[108:111]// 00000000B20C: D3F3006C 1DB2F9A4
	buffer_load_dword v77, s[20:23], 0 offen lds               // 00000000B214: E0511000 8005004D
	s_add_u32 m0, 0, s49                                       // 00000000B21C: 807C3180
	v_mfma_f32_16x16x32_fp8_fp8 v[108:111], a[166:167], a[126:127], v[108:111]// 00000000B220: D3F3006C 1DB2FDA6
	v_mfma_f32_16x16x32_fp8_fp8 v[140:143], a[168:169], a[120:121], v[140:143]// 00000000B228: D3F3008C 1E32F1A8
	v_mfma_f32_16x16x32_fp8_fp8 v[140:143], a[170:171], a[122:123], v[140:143]// 00000000B230: D3F3008C 1E32F5AA
	v_mfma_f32_16x16x32_fp8_fp8 v[140:143], a[172:173], a[124:125], v[140:143]// 00000000B238: D3F3008C 1E32F9AC
	v_mfma_f32_16x16x32_fp8_fp8 v[140:143], a[174:175], a[126:127], v[140:143]// 00000000B240: D3F3008C 1E32FDAE
	s_waitcnt vmcnt(20)                                        // 00000000B248: BF8C4F74
	s_barrier                                                  // 00000000B24C: BF8A0000
	v_mfma_f32_16x16x32_fp8_fp8 v[144:147], a[128:129], a[64:65], v[144:147]// 00000000B250: D3F30090 1E428180
	buffer_load_dwordx4 a[160:163], v78, s[84:87], 0 offen     // 00000000B258: E05C1000 8095A04E
	v_mfma_f32_16x16x32_fp8_fp8 v[144:147], a[130:131], a[66:67], v[144:147]// 00000000B260: D3F30090 1E428582
	v_mfma_f32_16x16x32_fp8_fp8 v[144:147], a[132:133], a[68:69], v[144:147]// 00000000B268: D3F30090 1E428984
	ds_read_b128 a[0:3], v2 offset:33024                       // 00000000B270: DBFE8100 00000002
	ds_read_b128 a[4:7], v2 offset:33088                       // 00000000B278: DBFE8140 04000002
	v_mfma_f32_16x16x32_fp8_fp8 v[144:147], a[134:135], a[70:71], v[144:147]// 00000000B280: D3F30090 1E428D86
	v_mfma_f32_16x16x32_fp8_fp8 v[176:179], a[136:137], a[64:65], v[176:179]// 00000000B288: D3F300B0 1EC28188
	buffer_load_dwordx4 a[164:167], v78, s[84:87], 0 offen offset:1024// 00000000B290: E05C1400 8095A44E
	v_mfma_f32_16x16x32_fp8_fp8 v[176:179], a[138:139], a[66:67], v[176:179]// 00000000B298: D3F300B0 1EC2858A
	v_mfma_f32_16x16x32_fp8_fp8 v[176:179], a[140:141], a[68:69], v[176:179]// 00000000B2A0: D3F300B0 1EC2898C
	ds_read_b128 a[8:11], v2 offset:33536                      // 00000000B2A8: DBFE8300 08000002
	ds_read_b128 a[12:15], v2 offset:33600                     // 00000000B2B0: DBFE8340 0C000002
	v_mfma_f32_16x16x32_fp8_fp8 v[176:179], a[142:143], a[70:71], v[176:179]// 00000000B2B8: D3F300B0 1EC28D8E
	v_mfma_f32_16x16x32_fp8_fp8 v[148:151], a[128:129], a[72:73], v[148:151]// 00000000B2C0: D3F30094 1E529180
	buffer_load_dwordx4 a[168:171], v79, s[84:87], 0 offen     // 00000000B2C8: E05C1000 8095A84F
	v_mfma_f32_16x16x32_fp8_fp8 v[148:151], a[130:131], a[74:75], v[148:151]// 00000000B2D0: D3F30094 1E529582
	v_mfma_f32_16x16x32_fp8_fp8 v[148:151], a[132:133], a[76:77], v[148:151]// 00000000B2D8: D3F30094 1E529984
	ds_read_b128 a[16:19], v2 offset:34048                     // 00000000B2E0: DBFE8500 10000002
	ds_read_b128 a[20:23], v2 offset:34112                     // 00000000B2E8: DBFE8540 14000002
	v_mfma_f32_16x16x32_fp8_fp8 v[148:151], a[134:135], a[78:79], v[148:151]// 00000000B2F0: D3F30094 1E529D86
	v_mfma_f32_16x16x32_fp8_fp8 v[180:183], a[136:137], a[72:73], v[180:183]// 00000000B2F8: D3F300B4 1ED29188
	buffer_load_dwordx4 a[172:175], v79, s[84:87], 0 offen offset:1024// 00000000B300: E05C1400 8095AC4F
	v_mfma_f32_16x16x32_fp8_fp8 v[180:183], a[138:139], a[74:75], v[180:183]// 00000000B308: D3F300B4 1ED2958A
	v_mfma_f32_16x16x32_fp8_fp8 v[180:183], a[140:141], a[76:77], v[180:183]// 00000000B310: D3F300B4 1ED2998C
	ds_read_b128 a[24:27], v2 offset:34560                     // 00000000B318: DBFE8700 18000002
	ds_read_b128 a[28:31], v2 offset:34624                     // 00000000B320: DBFE8740 1C000002
	v_mfma_f32_16x16x32_fp8_fp8 v[180:183], a[142:143], a[78:79], v[180:183]// 00000000B328: D3F300B4 1ED29D8E
	v_mfma_f32_16x16x32_fp8_fp8 v[152:155], a[128:129], a[80:81], v[152:155]// 00000000B330: D3F30098 1E62A180
	v_mfma_f32_16x16x32_fp8_fp8 v[152:155], a[130:131], a[82:83], v[152:155]// 00000000B338: D3F30098 1E62A582
	v_mfma_f32_16x16x32_fp8_fp8 v[152:155], a[132:133], a[84:85], v[152:155]// 00000000B340: D3F30098 1E62A984
	ds_read_b128 a[32:35], v2 offset:35072                     // 00000000B348: DBFE8900 20000002
	ds_read_b128 a[36:39], v2 offset:35136                     // 00000000B350: DBFE8940 24000002
	v_mfma_f32_16x16x32_fp8_fp8 v[152:155], a[134:135], a[86:87], v[152:155]// 00000000B358: D3F30098 1E62AD86
	v_mfma_f32_16x16x32_fp8_fp8 v[184:187], a[136:137], a[80:81], v[184:187]// 00000000B360: D3F300B8 1EE2A188
	v_mfma_f32_16x16x32_fp8_fp8 v[184:187], a[138:139], a[82:83], v[184:187]// 00000000B368: D3F300B8 1EE2A58A
	v_mfma_f32_16x16x32_fp8_fp8 v[184:187], a[140:141], a[84:85], v[184:187]// 00000000B370: D3F300B8 1EE2A98C
	ds_read_b128 a[40:43], v2 offset:35584                     // 00000000B378: DBFE8B00 28000002
	ds_read_b128 a[44:47], v2 offset:35648                     // 00000000B380: DBFE8B40 2C000002
	v_mfma_f32_16x16x32_fp8_fp8 v[184:187], a[142:143], a[86:87], v[184:187]// 00000000B388: D3F300B8 1EE2AD8E
	v_mfma_f32_16x16x32_fp8_fp8 v[156:159], a[128:129], a[88:89], v[156:159]// 00000000B390: D3F3009C 1E72B180
	v_mfma_f32_16x16x32_fp8_fp8 v[156:159], a[130:131], a[90:91], v[156:159]// 00000000B398: D3F3009C 1E72B582
	v_mfma_f32_16x16x32_fp8_fp8 v[156:159], a[132:133], a[92:93], v[156:159]// 00000000B3A0: D3F3009C 1E72B984
	ds_read_b128 a[48:51], v2 offset:36096                     // 00000000B3A8: DBFE8D00 30000002
	ds_read_b128 a[52:55], v2 offset:36160                     // 00000000B3B0: DBFE8D40 34000002
	v_mfma_f32_16x16x32_fp8_fp8 v[156:159], a[134:135], a[94:95], v[156:159]// 00000000B3B8: D3F3009C 1E72BD86
	v_mfma_f32_16x16x32_fp8_fp8 v[188:191], a[136:137], a[88:89], v[188:191]// 00000000B3C0: D3F300BC 1EF2B188
	v_mfma_f32_16x16x32_fp8_fp8 v[188:191], a[138:139], a[90:91], v[188:191]// 00000000B3C8: D3F300BC 1EF2B58A
	v_mfma_f32_16x16x32_fp8_fp8 v[188:191], a[140:141], a[92:93], v[188:191]// 00000000B3D0: D3F300BC 1EF2B98C
	ds_read_b128 a[56:59], v2 offset:36608                     // 00000000B3D8: DBFE8F00 38000002
	ds_read_b128 a[60:63], v2 offset:36672                     // 00000000B3E0: DBFE8F40 3C000002
	v_mfma_f32_16x16x32_fp8_fp8 v[188:191], a[142:143], a[94:95], v[188:191]// 00000000B3E8: D3F300BC 1EF2BD8E
	v_mfma_f32_16x16x32_fp8_fp8 v[160:163], a[128:129], a[96:97], v[160:163]// 00000000B3F0: D3F300A0 1E82C180
	v_mfma_f32_16x16x32_fp8_fp8 v[160:163], a[130:131], a[98:99], v[160:163]// 00000000B3F8: D3F300A0 1E82C582
	v_mfma_f32_16x16x32_fp8_fp8 v[160:163], a[132:133], a[100:101], v[160:163]// 00000000B400: D3F300A0 1E82C984
	v_mfma_f32_16x16x32_fp8_fp8 v[160:163], a[134:135], a[102:103], v[160:163]// 00000000B408: D3F300A0 1E82CD86
	v_mfma_f32_16x16x32_fp8_fp8 v[192:195], a[136:137], a[96:97], v[192:195]// 00000000B410: D3F300C0 1F02C188
	v_mfma_f32_16x16x32_fp8_fp8 v[192:195], a[138:139], a[98:99], v[192:195]// 00000000B418: D3F300C0 1F02C58A
	v_mfma_f32_16x16x32_fp8_fp8 v[192:195], a[140:141], a[100:101], v[192:195]// 00000000B420: D3F300C0 1F02C98C
	v_mfma_f32_16x16x32_fp8_fp8 v[192:195], a[142:143], a[102:103], v[192:195]// 00000000B428: D3F300C0 1F02CD8E
	v_mfma_f32_16x16x32_fp8_fp8 v[164:167], a[128:129], a[104:105], v[164:167]// 00000000B430: D3F300A4 1E92D180
	v_mfma_f32_16x16x32_fp8_fp8 v[164:167], a[130:131], a[106:107], v[164:167]// 00000000B438: D3F300A4 1E92D582
	v_mfma_f32_16x16x32_fp8_fp8 v[164:167], a[132:133], a[108:109], v[164:167]// 00000000B440: D3F300A4 1E92D984
	v_mfma_f32_16x16x32_fp8_fp8 v[164:167], a[134:135], a[110:111], v[164:167]// 00000000B448: D3F300A4 1E92DD86
	v_mfma_f32_16x16x32_fp8_fp8 v[196:199], a[136:137], a[104:105], v[196:199]// 00000000B450: D3F300C4 1F12D188
	v_mfma_f32_16x16x32_fp8_fp8 v[196:199], a[138:139], a[106:107], v[196:199]// 00000000B458: D3F300C4 1F12D58A
	v_mfma_f32_16x16x32_fp8_fp8 v[196:199], a[140:141], a[108:109], v[196:199]// 00000000B460: D3F300C4 1F12D98C
	v_mfma_f32_16x16x32_fp8_fp8 v[196:199], a[142:143], a[110:111], v[196:199]// 00000000B468: D3F300C4 1F12DD8E
	v_mfma_f32_16x16x32_fp8_fp8 v[168:171], a[128:129], a[112:113], v[168:171]// 00000000B470: D3F300A8 1EA2E180
	v_mfma_f32_16x16x32_fp8_fp8 v[168:171], a[130:131], a[114:115], v[168:171]// 00000000B478: D3F300A8 1EA2E582
	v_mfma_f32_16x16x32_fp8_fp8 v[168:171], a[132:133], a[116:117], v[168:171]// 00000000B480: D3F300A8 1EA2E984
	v_mfma_f32_16x16x32_fp8_fp8 v[168:171], a[134:135], a[118:119], v[168:171]// 00000000B488: D3F300A8 1EA2ED86
	v_mfma_f32_16x16x32_fp8_fp8 v[200:203], a[136:137], a[112:113], v[200:203]// 00000000B490: D3F300C8 1F22E188
	v_mfma_f32_16x16x32_fp8_fp8 v[200:203], a[138:139], a[114:115], v[200:203]// 00000000B498: D3F300C8 1F22E58A
	v_mfma_f32_16x16x32_fp8_fp8 v[200:203], a[140:141], a[116:117], v[200:203]// 00000000B4A0: D3F300C8 1F22E98C
	v_mfma_f32_16x16x32_fp8_fp8 v[200:203], a[142:143], a[118:119], v[200:203]// 00000000B4A8: D3F300C8 1F22ED8E
	v_mfma_f32_16x16x32_fp8_fp8 v[172:175], a[128:129], a[120:121], v[172:175]// 00000000B4B0: D3F300AC 1EB2F180
	s_add_u32 s60, 0x180, s80                                  // 00000000B4B8: 803C50FF 00000180
	s_cmp_lt_u32 s60, s81                                      // 00000000B4C0: BF0A513C
	s_cselect_b32 s57, s57, 0                                  // 00000000B4C4: 85398039
	v_mfma_f32_16x16x32_fp8_fp8 v[172:175], a[130:131], a[122:123], v[172:175]// 00000000B4C8: D3F300AC 1EB2F582
	s_add_u32 s60, 0x100, s80                                  // 00000000B4D0: 803C50FF 00000100
	s_cmp_lt_u32 s60, s81                                      // 00000000B4D8: BF0A513C
	s_cselect_b32 s58, s58, 0                                  // 00000000B4DC: 853A803A
	v_mfma_f32_16x16x32_fp8_fp8 v[172:175], a[132:133], a[124:125], v[172:175]// 00000000B4E0: D3F300AC 1EB2F984
	s_add_u32 s60, 0x100, s80                                  // 00000000B4E8: 803C50FF 00000100
	s_cmp_lt_u32 s60, s81                                      // 00000000B4F0: BF0A513C
	s_cselect_b32 s83, s83, 0                                  // 00000000B4F4: 85538053
	v_mfma_f32_16x16x32_fp8_fp8 v[172:175], a[134:135], a[126:127], v[172:175]// 00000000B4F8: D3F300AC 1EB2FD86
	s_add_u32 s24, s58, s24                                    // 00000000B500: 8018183A
	s_addc_u32 s25, 0, s25                                     // 00000000B504: 82191980
	v_mfma_f32_16x16x32_fp8_fp8 v[204:207], a[136:137], a[120:121], v[204:207]// 00000000B508: D3F300CC 1F32F188
	s_add_u32 s20, s57, s20                                    // 00000000B510: 80141439
	s_addc_u32 s21, 0, s21                                     // 00000000B514: 82151580
	v_mfma_f32_16x16x32_fp8_fp8 v[204:207], a[138:139], a[122:123], v[204:207]// 00000000B518: D3F300CC 1F32F58A
	s_add_u32 s84, s83, s84                                    // 00000000B520: 80545453
	s_addc_u32 s85, 0, s85                                     // 00000000B524: 82555580
	v_mfma_f32_16x16x32_fp8_fp8 v[204:207], a[140:141], a[124:125], v[204:207]// 00000000B528: D3F300CC 1F32F98C
	v_mfma_f32_16x16x32_fp8_fp8 v[204:207], a[142:143], a[126:127], v[204:207]// 00000000B530: D3F300CC 1F32FD8E
	s_addk_i32 s80, 0x80                                       // 00000000B538: B7500080
	s_cmp_lt_i32 s80, s81                                      // 00000000B53C: BF045150
	s_cbranch_scc0 label_28F1                                  // 00000000B540: BF84061D
	s_waitcnt vmcnt(20) lgkmcnt(0)                             // 00000000B544: BF8C4074
	v_mfma_f32_16x16x32_fp8_fp8 v[80:83], a[144:145], a[0:1], v[80:83]// 00000000B548: D3F30050 1D420190
	buffer_load_dwordx4 a[128:131], v78, s[24:27], 0 offen     // 00000000B550: E05C1000 8086804E
	v_mfma_f32_16x16x32_fp8_fp8 v[80:83], a[146:147], a[2:3], v[80:83]// 00000000B558: D3F30050 1D420592
	v_mfma_f32_16x16x32_fp8_fp8 v[80:83], a[148:149], a[4:5], v[80:83]// 00000000B560: D3F30050 1D420994
	v_mfma_f32_16x16x32_fp8_fp8 v[80:83], a[150:151], a[6:7], v[80:83]// 00000000B568: D3F30050 1D420D96
	v_mfma_f32_16x16x32_fp8_fp8 v[112:115], a[152:153], a[0:1], v[112:115]// 00000000B570: D3F30070 1DC20198
	buffer_load_dwordx4 a[132:135], v78, s[24:27], 0 offen offset:1024// 00000000B578: E05C1400 8086844E
	v_mfma_f32_16x16x32_fp8_fp8 v[112:115], a[154:155], a[2:3], v[112:115]// 00000000B580: D3F30070 1DC2059A
	v_mfma_f32_16x16x32_fp8_fp8 v[112:115], a[156:157], a[4:5], v[112:115]// 00000000B588: D3F30070 1DC2099C
	v_mfma_f32_16x16x32_fp8_fp8 v[112:115], a[158:159], a[6:7], v[112:115]// 00000000B590: D3F30070 1DC20D9E
	v_mfma_f32_16x16x32_fp8_fp8 v[84:87], a[144:145], a[8:9], v[84:87]// 00000000B598: D3F30054 1D521190
	buffer_load_dwordx4 a[136:139], v79, s[24:27], 0 offen     // 00000000B5A0: E05C1000 8086884F
	v_mfma_f32_16x16x32_fp8_fp8 v[84:87], a[146:147], a[10:11], v[84:87]// 00000000B5A8: D3F30054 1D521592
	v_mfma_f32_16x16x32_fp8_fp8 v[84:87], a[148:149], a[12:13], v[84:87]// 00000000B5B0: D3F30054 1D521994
	v_mfma_f32_16x16x32_fp8_fp8 v[84:87], a[150:151], a[14:15], v[84:87]// 00000000B5B8: D3F30054 1D521D96
	v_mfma_f32_16x16x32_fp8_fp8 v[116:119], a[152:153], a[8:9], v[116:119]// 00000000B5C0: D3F30074 1DD21198
	buffer_load_dwordx4 a[140:143], v79, s[24:27], 0 offen offset:1024// 00000000B5C8: E05C1400 80868C4F
	buffer_load_dword v62, s[20:23], 0 offen lds               // 00000000B5D0: E0511000 8005003E
	s_add_u32 m0, 0x100, s49                                   // 00000000B5D8: 807C31FF 00000100
	v_mfma_f32_16x16x32_fp8_fp8 v[116:119], a[154:155], a[10:11], v[116:119]// 00000000B5E0: D3F30074 1DD2159A
	v_mfma_f32_16x16x32_fp8_fp8 v[116:119], a[156:157], a[12:13], v[116:119]// 00000000B5E8: D3F30074 1DD2199C
	buffer_load_dword v63, s[20:23], 0 offen lds               // 00000000B5F0: E0511000 8005003F
	s_add_u32 m0, 0x200, s49                                   // 00000000B5F8: 807C31FF 00000200
	v_mfma_f32_16x16x32_fp8_fp8 v[116:119], a[158:159], a[14:15], v[116:119]// 00000000B600: D3F30074 1DD21D9E
	v_mfma_f32_16x16x32_fp8_fp8 v[88:91], a[144:145], a[16:17], v[88:91]// 00000000B608: D3F30058 1D622190
	buffer_load_dword v64, s[20:23], 0 offen lds               // 00000000B610: E0511000 80050040
	s_add_u32 m0, 0x300, s49                                   // 00000000B618: 807C31FF 00000300
	v_mfma_f32_16x16x32_fp8_fp8 v[88:91], a[146:147], a[18:19], v[88:91]// 00000000B620: D3F30058 1D622592
	v_mfma_f32_16x16x32_fp8_fp8 v[88:91], a[148:149], a[20:21], v[88:91]// 00000000B628: D3F30058 1D622994
	buffer_load_dword v65, s[20:23], 0 offen lds               // 00000000B630: E0511000 80050041
	s_add_u32 m0, 0x400, s49                                   // 00000000B638: 807C31FF 00000400
	v_mfma_f32_16x16x32_fp8_fp8 v[88:91], a[150:151], a[22:23], v[88:91]// 00000000B640: D3F30058 1D622D96
	v_mfma_f32_16x16x32_fp8_fp8 v[120:123], a[152:153], a[16:17], v[120:123]// 00000000B648: D3F30078 1DE22198
	buffer_load_dword v66, s[20:23], 0 offen lds               // 00000000B650: E0511000 80050042
	s_add_u32 m0, 0x500, s49                                   // 00000000B658: 807C31FF 00000500
	v_mfma_f32_16x16x32_fp8_fp8 v[120:123], a[154:155], a[18:19], v[120:123]// 00000000B660: D3F30078 1DE2259A
	v_mfma_f32_16x16x32_fp8_fp8 v[120:123], a[156:157], a[20:21], v[120:123]// 00000000B668: D3F30078 1DE2299C
	buffer_load_dword v67, s[20:23], 0 offen lds               // 00000000B670: E0511000 80050043
	s_add_u32 m0, 0x600, s49                                   // 00000000B678: 807C31FF 00000600
	v_mfma_f32_16x16x32_fp8_fp8 v[120:123], a[158:159], a[22:23], v[120:123]// 00000000B680: D3F30078 1DE22D9E
	v_mfma_f32_16x16x32_fp8_fp8 v[92:95], a[144:145], a[24:25], v[92:95]// 00000000B688: D3F3005C 1D723190
	buffer_load_dword v68, s[20:23], 0 offen lds               // 00000000B690: E0511000 80050044
	s_add_u32 m0, 0x700, s49                                   // 00000000B698: 807C31FF 00000700
	v_mfma_f32_16x16x32_fp8_fp8 v[92:95], a[146:147], a[26:27], v[92:95]// 00000000B6A0: D3F3005C 1D723592
	v_mfma_f32_16x16x32_fp8_fp8 v[92:95], a[148:149], a[28:29], v[92:95]// 00000000B6A8: D3F3005C 1D723994
	buffer_load_dword v69, s[20:23], 0 offen lds               // 00000000B6B0: E0511000 80050045
	s_add_u32 m0, 0x800, s49                                   // 00000000B6B8: 807C31FF 00000800
	v_mfma_f32_16x16x32_fp8_fp8 v[92:95], a[150:151], a[30:31], v[92:95]// 00000000B6C0: D3F3005C 1D723D96
	v_mfma_f32_16x16x32_fp8_fp8 v[124:127], a[152:153], a[24:25], v[124:127]// 00000000B6C8: D3F3007C 1DF23198
	buffer_load_dword v70, s[20:23], 0 offen lds               // 00000000B6D0: E0511000 80050046
	s_add_u32 m0, 0x900, s49                                   // 00000000B6D8: 807C31FF 00000900
	v_mfma_f32_16x16x32_fp8_fp8 v[124:127], a[154:155], a[26:27], v[124:127]// 00000000B6E0: D3F3007C 1DF2359A
	v_mfma_f32_16x16x32_fp8_fp8 v[124:127], a[156:157], a[28:29], v[124:127]// 00000000B6E8: D3F3007C 1DF2399C
	buffer_load_dword v71, s[20:23], 0 offen lds               // 00000000B6F0: E0511000 80050047
	s_add_u32 m0, 0xa00, s49                                   // 00000000B6F8: 807C31FF 00000A00
	v_mfma_f32_16x16x32_fp8_fp8 v[124:127], a[158:159], a[30:31], v[124:127]// 00000000B700: D3F3007C 1DF23D9E
	v_mfma_f32_16x16x32_fp8_fp8 v[96:99], a[144:145], a[32:33], v[96:99]// 00000000B708: D3F30060 1D824190
	v_mfma_f32_16x16x32_fp8_fp8 v[96:99], a[146:147], a[34:35], v[96:99]// 00000000B710: D3F30060 1D824592
	v_mfma_f32_16x16x32_fp8_fp8 v[96:99], a[148:149], a[36:37], v[96:99]// 00000000B718: D3F30060 1D824994
	v_mfma_f32_16x16x32_fp8_fp8 v[96:99], a[150:151], a[38:39], v[96:99]// 00000000B720: D3F30060 1D824D96
	v_mfma_f32_16x16x32_fp8_fp8 v[128:131], a[152:153], a[32:33], v[128:131]// 00000000B728: D3F30080 1E024198
	v_mfma_f32_16x16x32_fp8_fp8 v[128:131], a[154:155], a[34:35], v[128:131]// 00000000B730: D3F30080 1E02459A
	v_mfma_f32_16x16x32_fp8_fp8 v[128:131], a[156:157], a[36:37], v[128:131]// 00000000B738: D3F30080 1E02499C
	v_mfma_f32_16x16x32_fp8_fp8 v[128:131], a[158:159], a[38:39], v[128:131]// 00000000B740: D3F30080 1E024D9E
	v_mfma_f32_16x16x32_fp8_fp8 v[100:103], a[144:145], a[40:41], v[100:103]// 00000000B748: D3F30064 1D925190
	buffer_load_dword v72, s[20:23], 0 offen lds               // 00000000B750: E0511000 80050048
	s_add_u32 m0, 0xb00, s49                                   // 00000000B758: 807C31FF 00000B00
	v_mfma_f32_16x16x32_fp8_fp8 v[100:103], a[146:147], a[42:43], v[100:103]// 00000000B760: D3F30064 1D925592
	v_mfma_f32_16x16x32_fp8_fp8 v[100:103], a[148:149], a[44:45], v[100:103]// 00000000B768: D3F30064 1D925994
	buffer_load_dword v73, s[20:23], 0 offen lds               // 00000000B770: E0511000 80050049
	s_add_u32 m0, 0xc00, s49                                   // 00000000B778: 807C31FF 00000C00
	v_mfma_f32_16x16x32_fp8_fp8 v[100:103], a[150:151], a[46:47], v[100:103]// 00000000B780: D3F30064 1D925D96
	v_mfma_f32_16x16x32_fp8_fp8 v[132:135], a[152:153], a[40:41], v[132:135]// 00000000B788: D3F30084 1E125198
	buffer_load_dword v74, s[20:23], 0 offen lds               // 00000000B790: E0511000 8005004A
	s_add_u32 m0, 0xd00, s49                                   // 00000000B798: 807C31FF 00000D00
	v_mfma_f32_16x16x32_fp8_fp8 v[132:135], a[154:155], a[42:43], v[132:135]// 00000000B7A0: D3F30084 1E12559A
	v_mfma_f32_16x16x32_fp8_fp8 v[132:135], a[156:157], a[44:45], v[132:135]// 00000000B7A8: D3F30084 1E12599C
	buffer_load_dword v75, s[20:23], 0 offen lds               // 00000000B7B0: E0511000 8005004B
	s_add_u32 m0, 0xe00, s49                                   // 00000000B7B8: 807C31FF 00000E00
	v_mfma_f32_16x16x32_fp8_fp8 v[132:135], a[158:159], a[46:47], v[132:135]// 00000000B7C0: D3F30084 1E125D9E
	v_mfma_f32_16x16x32_fp8_fp8 v[104:107], a[144:145], a[48:49], v[104:107]// 00000000B7C8: D3F30068 1DA26190
	v_mfma_f32_16x16x32_fp8_fp8 v[104:107], a[146:147], a[50:51], v[104:107]// 00000000B7D0: D3F30068 1DA26592
	v_mfma_f32_16x16x32_fp8_fp8 v[104:107], a[148:149], a[52:53], v[104:107]// 00000000B7D8: D3F30068 1DA26994
	v_mfma_f32_16x16x32_fp8_fp8 v[104:107], a[150:151], a[54:55], v[104:107]// 00000000B7E0: D3F30068 1DA26D96
	v_mfma_f32_16x16x32_fp8_fp8 v[136:139], a[152:153], a[48:49], v[136:139]// 00000000B7E8: D3F30088 1E226198
	v_mfma_f32_16x16x32_fp8_fp8 v[136:139], a[154:155], a[50:51], v[136:139]// 00000000B7F0: D3F30088 1E22659A
	v_mfma_f32_16x16x32_fp8_fp8 v[136:139], a[156:157], a[52:53], v[136:139]// 00000000B7F8: D3F30088 1E22699C
	v_mfma_f32_16x16x32_fp8_fp8 v[136:139], a[158:159], a[54:55], v[136:139]// 00000000B800: D3F30088 1E226D9E
	v_mfma_f32_16x16x32_fp8_fp8 v[108:111], a[144:145], a[56:57], v[108:111]// 00000000B808: D3F3006C 1DB27190
	buffer_load_dword v76, s[20:23], 0 offen lds               // 00000000B810: E0511000 8005004C
	s_add_u32 m0, 0xf00, s49                                   // 00000000B818: 807C31FF 00000F00
	v_mfma_f32_16x16x32_fp8_fp8 v[108:111], a[146:147], a[58:59], v[108:111]// 00000000B820: D3F3006C 1DB27592
	v_mfma_f32_16x16x32_fp8_fp8 v[108:111], a[148:149], a[60:61], v[108:111]// 00000000B828: D3F3006C 1DB27994
	buffer_load_dword v77, s[20:23], 0 offen lds               // 00000000B830: E0511000 8005004D
	s_add_u32 m0, 0, s50                                       // 00000000B838: 807C3280
	v_mfma_f32_16x16x32_fp8_fp8 v[108:111], a[150:151], a[62:63], v[108:111]// 00000000B83C: D3F3006C 1DB27D96
	v_mfma_f32_16x16x32_fp8_fp8 v[140:143], a[152:153], a[56:57], v[140:143]// 00000000B844: D3F3008C 1E327198
	v_mfma_f32_16x16x32_fp8_fp8 v[140:143], a[154:155], a[58:59], v[140:143]// 00000000B84C: D3F3008C 1E32759A
	v_mfma_f32_16x16x32_fp8_fp8 v[140:143], a[156:157], a[60:61], v[140:143]// 00000000B854: D3F3008C 1E32799C
	v_mfma_f32_16x16x32_fp8_fp8 v[140:143], a[158:159], a[62:63], v[140:143]// 00000000B85C: D3F3008C 1E327D9E
	s_waitcnt vmcnt(20)                                        // 00000000B864: BF8C4F74
	s_barrier                                                  // 00000000B868: BF8A0000
	v_mfma_f32_16x16x32_fp8_fp8 v[144:147], a[160:161], a[0:1], v[144:147]// 00000000B86C: D3F30090 1E4201A0
	buffer_load_dwordx4 a[144:147], v78, s[84:87], 0 offen     // 00000000B874: E05C1000 8095904E
	v_mfma_f32_16x16x32_fp8_fp8 v[144:147], a[162:163], a[2:3], v[144:147]// 00000000B87C: D3F30090 1E4205A2
	v_mfma_f32_16x16x32_fp8_fp8 v[144:147], a[164:165], a[4:5], v[144:147]// 00000000B884: D3F30090 1E4209A4
	ds_read_b128 a[64:67], v2                                  // 00000000B88C: DBFE0000 40000002
	ds_read_b128 a[68:71], v2 offset:64                        // 00000000B894: DBFE0040 44000002
	v_mfma_f32_16x16x32_fp8_fp8 v[144:147], a[166:167], a[6:7], v[144:147]// 00000000B89C: D3F30090 1E420DA6
	v_mfma_f32_16x16x32_fp8_fp8 v[176:179], a[168:169], a[0:1], v[176:179]// 00000000B8A4: D3F300B0 1EC201A8
	buffer_load_dwordx4 a[148:151], v78, s[84:87], 0 offen offset:1024// 00000000B8AC: E05C1400 8095944E
	v_mfma_f32_16x16x32_fp8_fp8 v[176:179], a[170:171], a[2:3], v[176:179]// 00000000B8B4: D3F300B0 1EC205AA
	v_mfma_f32_16x16x32_fp8_fp8 v[176:179], a[172:173], a[4:5], v[176:179]// 00000000B8BC: D3F300B0 1EC209AC
	ds_read_b128 a[72:75], v2 offset:512                       // 00000000B8C4: DBFE0200 48000002
	ds_read_b128 a[76:79], v2 offset:576                       // 00000000B8CC: DBFE0240 4C000002
	v_mfma_f32_16x16x32_fp8_fp8 v[176:179], a[174:175], a[6:7], v[176:179]// 00000000B8D4: D3F300B0 1EC20DAE
	v_mfma_f32_16x16x32_fp8_fp8 v[148:151], a[160:161], a[8:9], v[148:151]// 00000000B8DC: D3F30094 1E5211A0
	buffer_load_dwordx4 a[152:155], v79, s[84:87], 0 offen     // 00000000B8E4: E05C1000 8095984F
	v_mfma_f32_16x16x32_fp8_fp8 v[148:151], a[162:163], a[10:11], v[148:151]// 00000000B8EC: D3F30094 1E5215A2
	v_mfma_f32_16x16x32_fp8_fp8 v[148:151], a[164:165], a[12:13], v[148:151]// 00000000B8F4: D3F30094 1E5219A4
	ds_read_b128 a[80:83], v2 offset:1024                      // 00000000B8FC: DBFE0400 50000002
	ds_read_b128 a[84:87], v2 offset:1088                      // 00000000B904: DBFE0440 54000002
	v_mfma_f32_16x16x32_fp8_fp8 v[148:151], a[166:167], a[14:15], v[148:151]// 00000000B90C: D3F30094 1E521DA6
	v_mfma_f32_16x16x32_fp8_fp8 v[180:183], a[168:169], a[8:9], v[180:183]// 00000000B914: D3F300B4 1ED211A8
	buffer_load_dwordx4 a[156:159], v79, s[84:87], 0 offen offset:1024// 00000000B91C: E05C1400 80959C4F
	v_mfma_f32_16x16x32_fp8_fp8 v[180:183], a[170:171], a[10:11], v[180:183]// 00000000B924: D3F300B4 1ED215AA
	v_mfma_f32_16x16x32_fp8_fp8 v[180:183], a[172:173], a[12:13], v[180:183]// 00000000B92C: D3F300B4 1ED219AC
	ds_read_b128 a[88:91], v2 offset:1536                      // 00000000B934: DBFE0600 58000002
	ds_read_b128 a[92:95], v2 offset:1600                      // 00000000B93C: DBFE0640 5C000002
	v_mfma_f32_16x16x32_fp8_fp8 v[180:183], a[174:175], a[14:15], v[180:183]// 00000000B944: D3F300B4 1ED21DAE
	v_mfma_f32_16x16x32_fp8_fp8 v[152:155], a[160:161], a[16:17], v[152:155]// 00000000B94C: D3F30098 1E6221A0
	v_mfma_f32_16x16x32_fp8_fp8 v[152:155], a[162:163], a[18:19], v[152:155]// 00000000B954: D3F30098 1E6225A2
	v_mfma_f32_16x16x32_fp8_fp8 v[152:155], a[164:165], a[20:21], v[152:155]// 00000000B95C: D3F30098 1E6229A4
	ds_read_b128 a[96:99], v2 offset:2048                      // 00000000B964: DBFE0800 60000002
	ds_read_b128 a[100:103], v2 offset:2112                    // 00000000B96C: DBFE0840 64000002
	v_mfma_f32_16x16x32_fp8_fp8 v[152:155], a[166:167], a[22:23], v[152:155]// 00000000B974: D3F30098 1E622DA6
	v_mfma_f32_16x16x32_fp8_fp8 v[184:187], a[168:169], a[16:17], v[184:187]// 00000000B97C: D3F300B8 1EE221A8
	v_mfma_f32_16x16x32_fp8_fp8 v[184:187], a[170:171], a[18:19], v[184:187]// 00000000B984: D3F300B8 1EE225AA
	v_mfma_f32_16x16x32_fp8_fp8 v[184:187], a[172:173], a[20:21], v[184:187]// 00000000B98C: D3F300B8 1EE229AC
	ds_read_b128 a[104:107], v2 offset:2560                    // 00000000B994: DBFE0A00 68000002
	ds_read_b128 a[108:111], v2 offset:2624                    // 00000000B99C: DBFE0A40 6C000002
	v_mfma_f32_16x16x32_fp8_fp8 v[184:187], a[174:175], a[22:23], v[184:187]// 00000000B9A4: D3F300B8 1EE22DAE
	v_mfma_f32_16x16x32_fp8_fp8 v[156:159], a[160:161], a[24:25], v[156:159]// 00000000B9AC: D3F3009C 1E7231A0
	v_mfma_f32_16x16x32_fp8_fp8 v[156:159], a[162:163], a[26:27], v[156:159]// 00000000B9B4: D3F3009C 1E7235A2
	v_mfma_f32_16x16x32_fp8_fp8 v[156:159], a[164:165], a[28:29], v[156:159]// 00000000B9BC: D3F3009C 1E7239A4
	ds_read_b128 a[112:115], v2 offset:3072                    // 00000000B9C4: DBFE0C00 70000002
	ds_read_b128 a[116:119], v2 offset:3136                    // 00000000B9CC: DBFE0C40 74000002
	v_mfma_f32_16x16x32_fp8_fp8 v[156:159], a[166:167], a[30:31], v[156:159]// 00000000B9D4: D3F3009C 1E723DA6
	v_mfma_f32_16x16x32_fp8_fp8 v[188:191], a[168:169], a[24:25], v[188:191]// 00000000B9DC: D3F300BC 1EF231A8
	v_mfma_f32_16x16x32_fp8_fp8 v[188:191], a[170:171], a[26:27], v[188:191]// 00000000B9E4: D3F300BC 1EF235AA
	v_mfma_f32_16x16x32_fp8_fp8 v[188:191], a[172:173], a[28:29], v[188:191]// 00000000B9EC: D3F300BC 1EF239AC
	ds_read_b128 a[120:123], v2 offset:3584                    // 00000000B9F4: DBFE0E00 78000002
	ds_read_b128 a[124:127], v2 offset:3648                    // 00000000B9FC: DBFE0E40 7C000002
	v_mfma_f32_16x16x32_fp8_fp8 v[188:191], a[174:175], a[30:31], v[188:191]// 00000000BA04: D3F300BC 1EF23DAE
	v_mfma_f32_16x16x32_fp8_fp8 v[160:163], a[160:161], a[32:33], v[160:163]// 00000000BA0C: D3F300A0 1E8241A0
	v_mfma_f32_16x16x32_fp8_fp8 v[160:163], a[162:163], a[34:35], v[160:163]// 00000000BA14: D3F300A0 1E8245A2
	v_mfma_f32_16x16x32_fp8_fp8 v[160:163], a[164:165], a[36:37], v[160:163]// 00000000BA1C: D3F300A0 1E8249A4
	v_mfma_f32_16x16x32_fp8_fp8 v[160:163], a[166:167], a[38:39], v[160:163]// 00000000BA24: D3F300A0 1E824DA6
	v_mfma_f32_16x16x32_fp8_fp8 v[192:195], a[168:169], a[32:33], v[192:195]// 00000000BA2C: D3F300C0 1F0241A8
	v_mfma_f32_16x16x32_fp8_fp8 v[192:195], a[170:171], a[34:35], v[192:195]// 00000000BA34: D3F300C0 1F0245AA
	v_mfma_f32_16x16x32_fp8_fp8 v[192:195], a[172:173], a[36:37], v[192:195]// 00000000BA3C: D3F300C0 1F0249AC
	v_mfma_f32_16x16x32_fp8_fp8 v[192:195], a[174:175], a[38:39], v[192:195]// 00000000BA44: D3F300C0 1F024DAE
	v_mfma_f32_16x16x32_fp8_fp8 v[164:167], a[160:161], a[40:41], v[164:167]// 00000000BA4C: D3F300A4 1E9251A0
	v_mfma_f32_16x16x32_fp8_fp8 v[164:167], a[162:163], a[42:43], v[164:167]// 00000000BA54: D3F300A4 1E9255A2
	v_mfma_f32_16x16x32_fp8_fp8 v[164:167], a[164:165], a[44:45], v[164:167]// 00000000BA5C: D3F300A4 1E9259A4
	v_mfma_f32_16x16x32_fp8_fp8 v[164:167], a[166:167], a[46:47], v[164:167]// 00000000BA64: D3F300A4 1E925DA6
	v_mfma_f32_16x16x32_fp8_fp8 v[196:199], a[168:169], a[40:41], v[196:199]// 00000000BA6C: D3F300C4 1F1251A8
	v_mfma_f32_16x16x32_fp8_fp8 v[196:199], a[170:171], a[42:43], v[196:199]// 00000000BA74: D3F300C4 1F1255AA
	v_mfma_f32_16x16x32_fp8_fp8 v[196:199], a[172:173], a[44:45], v[196:199]// 00000000BA7C: D3F300C4 1F1259AC
	v_mfma_f32_16x16x32_fp8_fp8 v[196:199], a[174:175], a[46:47], v[196:199]// 00000000BA84: D3F300C4 1F125DAE
	v_mfma_f32_16x16x32_fp8_fp8 v[168:171], a[160:161], a[48:49], v[168:171]// 00000000BA8C: D3F300A8 1EA261A0
	v_mfma_f32_16x16x32_fp8_fp8 v[168:171], a[162:163], a[50:51], v[168:171]// 00000000BA94: D3F300A8 1EA265A2
	v_mfma_f32_16x16x32_fp8_fp8 v[168:171], a[164:165], a[52:53], v[168:171]// 00000000BA9C: D3F300A8 1EA269A4
	v_mfma_f32_16x16x32_fp8_fp8 v[168:171], a[166:167], a[54:55], v[168:171]// 00000000BAA4: D3F300A8 1EA26DA6
	v_mfma_f32_16x16x32_fp8_fp8 v[200:203], a[168:169], a[48:49], v[200:203]// 00000000BAAC: D3F300C8 1F2261A8
	v_mfma_f32_16x16x32_fp8_fp8 v[200:203], a[170:171], a[50:51], v[200:203]// 00000000BAB4: D3F300C8 1F2265AA
	v_mfma_f32_16x16x32_fp8_fp8 v[200:203], a[172:173], a[52:53], v[200:203]// 00000000BABC: D3F300C8 1F2269AC
	v_mfma_f32_16x16x32_fp8_fp8 v[200:203], a[174:175], a[54:55], v[200:203]// 00000000BAC4: D3F300C8 1F226DAE
	v_mfma_f32_16x16x32_fp8_fp8 v[172:175], a[160:161], a[56:57], v[172:175]// 00000000BACC: D3F300AC 1EB271A0
	s_add_u32 s60, 0x180, s80                                  // 00000000BAD4: 803C50FF 00000180
	s_cmp_lt_u32 s60, s81                                      // 00000000BADC: BF0A513C
	s_cselect_b32 s57, s57, 0                                  // 00000000BAE0: 85398039
	v_mfma_f32_16x16x32_fp8_fp8 v[172:175], a[162:163], a[58:59], v[172:175]// 00000000BAE4: D3F300AC 1EB275A2
	s_add_u32 s60, 0x100, s80                                  // 00000000BAEC: 803C50FF 00000100
	s_cmp_lt_u32 s60, s81                                      // 00000000BAF4: BF0A513C
	s_cselect_b32 s58, s58, 0                                  // 00000000BAF8: 853A803A
	v_mfma_f32_16x16x32_fp8_fp8 v[172:175], a[164:165], a[60:61], v[172:175]// 00000000BAFC: D3F300AC 1EB279A4
	s_add_u32 s60, 0x100, s80                                  // 00000000BB04: 803C50FF 00000100
	s_cmp_lt_u32 s60, s81                                      // 00000000BB0C: BF0A513C
	s_cselect_b32 s83, s83, 0                                  // 00000000BB10: 85538053
	v_mfma_f32_16x16x32_fp8_fp8 v[172:175], a[166:167], a[62:63], v[172:175]// 00000000BB14: D3F300AC 1EB27DA6
	s_add_u32 s24, s58, s24                                    // 00000000BB1C: 8018183A
	s_addc_u32 s25, 0, s25                                     // 00000000BB20: 82191980
	v_mfma_f32_16x16x32_fp8_fp8 v[204:207], a[168:169], a[56:57], v[204:207]// 00000000BB24: D3F300CC 1F3271A8
	s_add_u32 s20, s57, s20                                    // 00000000BB2C: 80141439
	s_addc_u32 s21, 0, s21                                     // 00000000BB30: 82151580
	v_mfma_f32_16x16x32_fp8_fp8 v[204:207], a[170:171], a[58:59], v[204:207]// 00000000BB34: D3F300CC 1F3275AA
	s_add_u32 s84, s83, s84                                    // 00000000BB3C: 80545453
	s_addc_u32 s85, 0, s85                                     // 00000000BB40: 82555580
	v_mfma_f32_16x16x32_fp8_fp8 v[204:207], a[172:173], a[60:61], v[204:207]// 00000000BB44: D3F300CC 1F3279AC
	v_mfma_f32_16x16x32_fp8_fp8 v[204:207], a[174:175], a[62:63], v[204:207]// 00000000BB4C: D3F300CC 1F327DAE
	s_addk_i32 s80, 0x80                                       // 00000000BB54: B7500080
	s_cmp_lt_i32 s80, s81                                      // 00000000BB58: BF045150
	s_cbranch_scc0 label_28F1                                  // 00000000BB5C: BF840496
	s_waitcnt vmcnt(20) lgkmcnt(0)                             // 00000000BB60: BF8C4074
	v_mfma_f32_16x16x32_fp8_fp8 v[80:83], a[128:129], a[64:65], v[80:83]// 00000000BB64: D3F30050 1D428180
	buffer_load_dwordx4 a[160:163], v78, s[24:27], 0 offen     // 00000000BB6C: E05C1000 8086A04E
	v_mfma_f32_16x16x32_fp8_fp8 v[80:83], a[130:131], a[66:67], v[80:83]// 00000000BB74: D3F30050 1D428582
	v_mfma_f32_16x16x32_fp8_fp8 v[80:83], a[132:133], a[68:69], v[80:83]// 00000000BB7C: D3F30050 1D428984
	v_mfma_f32_16x16x32_fp8_fp8 v[80:83], a[134:135], a[70:71], v[80:83]// 00000000BB84: D3F30050 1D428D86
	v_mfma_f32_16x16x32_fp8_fp8 v[112:115], a[136:137], a[64:65], v[112:115]// 00000000BB8C: D3F30070 1DC28188
	buffer_load_dwordx4 a[164:167], v78, s[24:27], 0 offen offset:1024// 00000000BB94: E05C1400 8086A44E
	v_mfma_f32_16x16x32_fp8_fp8 v[112:115], a[138:139], a[66:67], v[112:115]// 00000000BB9C: D3F30070 1DC2858A
	v_mfma_f32_16x16x32_fp8_fp8 v[112:115], a[140:141], a[68:69], v[112:115]// 00000000BBA4: D3F30070 1DC2898C
	v_mfma_f32_16x16x32_fp8_fp8 v[112:115], a[142:143], a[70:71], v[112:115]// 00000000BBAC: D3F30070 1DC28D8E
	v_mfma_f32_16x16x32_fp8_fp8 v[84:87], a[128:129], a[72:73], v[84:87]// 00000000BBB4: D3F30054 1D529180
	buffer_load_dwordx4 a[168:171], v79, s[24:27], 0 offen     // 00000000BBBC: E05C1000 8086A84F
	v_mfma_f32_16x16x32_fp8_fp8 v[84:87], a[130:131], a[74:75], v[84:87]// 00000000BBC4: D3F30054 1D529582
	v_mfma_f32_16x16x32_fp8_fp8 v[84:87], a[132:133], a[76:77], v[84:87]// 00000000BBCC: D3F30054 1D529984
	v_mfma_f32_16x16x32_fp8_fp8 v[84:87], a[134:135], a[78:79], v[84:87]// 00000000BBD4: D3F30054 1D529D86
	v_mfma_f32_16x16x32_fp8_fp8 v[116:119], a[136:137], a[72:73], v[116:119]// 00000000BBDC: D3F30074 1DD29188
	buffer_load_dwordx4 a[172:175], v79, s[24:27], 0 offen offset:1024// 00000000BBE4: E05C1400 8086AC4F
	buffer_load_dword v62, s[20:23], 0 offen lds               // 00000000BBEC: E0511000 8005003E
	s_add_u32 m0, 0x100, s50                                   // 00000000BBF4: 807C32FF 00000100
	v_mfma_f32_16x16x32_fp8_fp8 v[116:119], a[138:139], a[74:75], v[116:119]// 00000000BBFC: D3F30074 1DD2958A
	v_mfma_f32_16x16x32_fp8_fp8 v[116:119], a[140:141], a[76:77], v[116:119]// 00000000BC04: D3F30074 1DD2998C
	buffer_load_dword v63, s[20:23], 0 offen lds               // 00000000BC0C: E0511000 8005003F
	s_add_u32 m0, 0x200, s50                                   // 00000000BC14: 807C32FF 00000200
	v_mfma_f32_16x16x32_fp8_fp8 v[116:119], a[142:143], a[78:79], v[116:119]// 00000000BC1C: D3F30074 1DD29D8E
	v_mfma_f32_16x16x32_fp8_fp8 v[88:91], a[128:129], a[80:81], v[88:91]// 00000000BC24: D3F30058 1D62A180
	buffer_load_dword v64, s[20:23], 0 offen lds               // 00000000BC2C: E0511000 80050040
	s_add_u32 m0, 0x300, s50                                   // 00000000BC34: 807C32FF 00000300
	v_mfma_f32_16x16x32_fp8_fp8 v[88:91], a[130:131], a[82:83], v[88:91]// 00000000BC3C: D3F30058 1D62A582
	v_mfma_f32_16x16x32_fp8_fp8 v[88:91], a[132:133], a[84:85], v[88:91]// 00000000BC44: D3F30058 1D62A984
	buffer_load_dword v65, s[20:23], 0 offen lds               // 00000000BC4C: E0511000 80050041
	s_add_u32 m0, 0x400, s50                                   // 00000000BC54: 807C32FF 00000400
	v_mfma_f32_16x16x32_fp8_fp8 v[88:91], a[134:135], a[86:87], v[88:91]// 00000000BC5C: D3F30058 1D62AD86
	v_mfma_f32_16x16x32_fp8_fp8 v[120:123], a[136:137], a[80:81], v[120:123]// 00000000BC64: D3F30078 1DE2A188
	buffer_load_dword v66, s[20:23], 0 offen lds               // 00000000BC6C: E0511000 80050042
	s_add_u32 m0, 0x500, s50                                   // 00000000BC74: 807C32FF 00000500
	v_mfma_f32_16x16x32_fp8_fp8 v[120:123], a[138:139], a[82:83], v[120:123]// 00000000BC7C: D3F30078 1DE2A58A
	v_mfma_f32_16x16x32_fp8_fp8 v[120:123], a[140:141], a[84:85], v[120:123]// 00000000BC84: D3F30078 1DE2A98C
	buffer_load_dword v67, s[20:23], 0 offen lds               // 00000000BC8C: E0511000 80050043
	s_add_u32 m0, 0x600, s50                                   // 00000000BC94: 807C32FF 00000600
	v_mfma_f32_16x16x32_fp8_fp8 v[120:123], a[142:143], a[86:87], v[120:123]// 00000000BC9C: D3F30078 1DE2AD8E
	v_mfma_f32_16x16x32_fp8_fp8 v[92:95], a[128:129], a[88:89], v[92:95]// 00000000BCA4: D3F3005C 1D72B180
	buffer_load_dword v68, s[20:23], 0 offen lds               // 00000000BCAC: E0511000 80050044
	s_add_u32 m0, 0x700, s50                                   // 00000000BCB4: 807C32FF 00000700
	v_mfma_f32_16x16x32_fp8_fp8 v[92:95], a[130:131], a[90:91], v[92:95]// 00000000BCBC: D3F3005C 1D72B582
	v_mfma_f32_16x16x32_fp8_fp8 v[92:95], a[132:133], a[92:93], v[92:95]// 00000000BCC4: D3F3005C 1D72B984
	buffer_load_dword v69, s[20:23], 0 offen lds               // 00000000BCCC: E0511000 80050045
	s_add_u32 m0, 0x800, s50                                   // 00000000BCD4: 807C32FF 00000800
	v_mfma_f32_16x16x32_fp8_fp8 v[92:95], a[134:135], a[94:95], v[92:95]// 00000000BCDC: D3F3005C 1D72BD86
	v_mfma_f32_16x16x32_fp8_fp8 v[124:127], a[136:137], a[88:89], v[124:127]// 00000000BCE4: D3F3007C 1DF2B188
	buffer_load_dword v70, s[20:23], 0 offen lds               // 00000000BCEC: E0511000 80050046
	s_add_u32 m0, 0x900, s50                                   // 00000000BCF4: 807C32FF 00000900
	v_mfma_f32_16x16x32_fp8_fp8 v[124:127], a[138:139], a[90:91], v[124:127]// 00000000BCFC: D3F3007C 1DF2B58A
	v_mfma_f32_16x16x32_fp8_fp8 v[124:127], a[140:141], a[92:93], v[124:127]// 00000000BD04: D3F3007C 1DF2B98C
	buffer_load_dword v71, s[20:23], 0 offen lds               // 00000000BD0C: E0511000 80050047
	s_add_u32 m0, 0xa00, s50                                   // 00000000BD14: 807C32FF 00000A00
	v_mfma_f32_16x16x32_fp8_fp8 v[124:127], a[142:143], a[94:95], v[124:127]// 00000000BD1C: D3F3007C 1DF2BD8E
	v_mfma_f32_16x16x32_fp8_fp8 v[96:99], a[128:129], a[96:97], v[96:99]// 00000000BD24: D3F30060 1D82C180
	v_mfma_f32_16x16x32_fp8_fp8 v[96:99], a[130:131], a[98:99], v[96:99]// 00000000BD2C: D3F30060 1D82C582
	v_mfma_f32_16x16x32_fp8_fp8 v[96:99], a[132:133], a[100:101], v[96:99]// 00000000BD34: D3F30060 1D82C984
	v_mfma_f32_16x16x32_fp8_fp8 v[96:99], a[134:135], a[102:103], v[96:99]// 00000000BD3C: D3F30060 1D82CD86
	v_mfma_f32_16x16x32_fp8_fp8 v[128:131], a[136:137], a[96:97], v[128:131]// 00000000BD44: D3F30080 1E02C188
	v_mfma_f32_16x16x32_fp8_fp8 v[128:131], a[138:139], a[98:99], v[128:131]// 00000000BD4C: D3F30080 1E02C58A
	v_mfma_f32_16x16x32_fp8_fp8 v[128:131], a[140:141], a[100:101], v[128:131]// 00000000BD54: D3F30080 1E02C98C
	v_mfma_f32_16x16x32_fp8_fp8 v[128:131], a[142:143], a[102:103], v[128:131]// 00000000BD5C: D3F30080 1E02CD8E
	v_mfma_f32_16x16x32_fp8_fp8 v[100:103], a[128:129], a[104:105], v[100:103]// 00000000BD64: D3F30064 1D92D180
	buffer_load_dword v72, s[20:23], 0 offen lds               // 00000000BD6C: E0511000 80050048
	s_add_u32 m0, 0xb00, s50                                   // 00000000BD74: 807C32FF 00000B00
	v_mfma_f32_16x16x32_fp8_fp8 v[100:103], a[130:131], a[106:107], v[100:103]// 00000000BD7C: D3F30064 1D92D582
	v_mfma_f32_16x16x32_fp8_fp8 v[100:103], a[132:133], a[108:109], v[100:103]// 00000000BD84: D3F30064 1D92D984
	buffer_load_dword v73, s[20:23], 0 offen lds               // 00000000BD8C: E0511000 80050049
	s_add_u32 m0, 0xc00, s50                                   // 00000000BD94: 807C32FF 00000C00
	v_mfma_f32_16x16x32_fp8_fp8 v[100:103], a[134:135], a[110:111], v[100:103]// 00000000BD9C: D3F30064 1D92DD86
	v_mfma_f32_16x16x32_fp8_fp8 v[132:135], a[136:137], a[104:105], v[132:135]// 00000000BDA4: D3F30084 1E12D188
	buffer_load_dword v74, s[20:23], 0 offen lds               // 00000000BDAC: E0511000 8005004A
	s_add_u32 m0, 0xd00, s50                                   // 00000000BDB4: 807C32FF 00000D00
	v_mfma_f32_16x16x32_fp8_fp8 v[132:135], a[138:139], a[106:107], v[132:135]// 00000000BDBC: D3F30084 1E12D58A
	v_mfma_f32_16x16x32_fp8_fp8 v[132:135], a[140:141], a[108:109], v[132:135]// 00000000BDC4: D3F30084 1E12D98C
	buffer_load_dword v75, s[20:23], 0 offen lds               // 00000000BDCC: E0511000 8005004B
	s_add_u32 m0, 0xe00, s50                                   // 00000000BDD4: 807C32FF 00000E00
	v_mfma_f32_16x16x32_fp8_fp8 v[132:135], a[142:143], a[110:111], v[132:135]// 00000000BDDC: D3F30084 1E12DD8E
	v_mfma_f32_16x16x32_fp8_fp8 v[104:107], a[128:129], a[112:113], v[104:107]// 00000000BDE4: D3F30068 1DA2E180
	v_mfma_f32_16x16x32_fp8_fp8 v[104:107], a[130:131], a[114:115], v[104:107]// 00000000BDEC: D3F30068 1DA2E582
	v_mfma_f32_16x16x32_fp8_fp8 v[104:107], a[132:133], a[116:117], v[104:107]// 00000000BDF4: D3F30068 1DA2E984
	v_mfma_f32_16x16x32_fp8_fp8 v[104:107], a[134:135], a[118:119], v[104:107]// 00000000BDFC: D3F30068 1DA2ED86
	v_mfma_f32_16x16x32_fp8_fp8 v[136:139], a[136:137], a[112:113], v[136:139]// 00000000BE04: D3F30088 1E22E188
	v_mfma_f32_16x16x32_fp8_fp8 v[136:139], a[138:139], a[114:115], v[136:139]// 00000000BE0C: D3F30088 1E22E58A
	v_mfma_f32_16x16x32_fp8_fp8 v[136:139], a[140:141], a[116:117], v[136:139]// 00000000BE14: D3F30088 1E22E98C
	v_mfma_f32_16x16x32_fp8_fp8 v[136:139], a[142:143], a[118:119], v[136:139]// 00000000BE1C: D3F30088 1E22ED8E
	v_mfma_f32_16x16x32_fp8_fp8 v[108:111], a[128:129], a[120:121], v[108:111]// 00000000BE24: D3F3006C 1DB2F180
	buffer_load_dword v76, s[20:23], 0 offen lds               // 00000000BE2C: E0511000 8005004C
	s_add_u32 m0, 0xf00, s50                                   // 00000000BE34: 807C32FF 00000F00
	v_mfma_f32_16x16x32_fp8_fp8 v[108:111], a[130:131], a[122:123], v[108:111]// 00000000BE3C: D3F3006C 1DB2F582
	v_mfma_f32_16x16x32_fp8_fp8 v[108:111], a[132:133], a[124:125], v[108:111]// 00000000BE44: D3F3006C 1DB2F984
	buffer_load_dword v77, s[20:23], 0 offen lds               // 00000000BE4C: E0511000 8005004D
	s_add_u32 m0, 0, s48                                       // 00000000BE54: 807C3080
	v_mfma_f32_16x16x32_fp8_fp8 v[108:111], a[134:135], a[126:127], v[108:111]// 00000000BE58: D3F3006C 1DB2FD86
	v_mfma_f32_16x16x32_fp8_fp8 v[140:143], a[136:137], a[120:121], v[140:143]// 00000000BE60: D3F3008C 1E32F188
	v_mfma_f32_16x16x32_fp8_fp8 v[140:143], a[138:139], a[122:123], v[140:143]// 00000000BE68: D3F3008C 1E32F58A
	v_mfma_f32_16x16x32_fp8_fp8 v[140:143], a[140:141], a[124:125], v[140:143]// 00000000BE70: D3F3008C 1E32F98C
	v_mfma_f32_16x16x32_fp8_fp8 v[140:143], a[142:143], a[126:127], v[140:143]// 00000000BE78: D3F3008C 1E32FD8E
	s_waitcnt vmcnt(20)                                        // 00000000BE80: BF8C4F74
	s_barrier                                                  // 00000000BE84: BF8A0000
	v_mfma_f32_16x16x32_fp8_fp8 v[144:147], a[144:145], a[64:65], v[144:147]// 00000000BE88: D3F30090 1E428190
	buffer_load_dwordx4 a[128:131], v78, s[84:87], 0 offen     // 00000000BE90: E05C1000 8095804E
	v_mfma_f32_16x16x32_fp8_fp8 v[144:147], a[146:147], a[66:67], v[144:147]// 00000000BE98: D3F30090 1E428592
	v_mfma_f32_16x16x32_fp8_fp8 v[144:147], a[148:149], a[68:69], v[144:147]// 00000000BEA0: D3F30090 1E428994
	ds_read_b128 a[0:3], v2 offset:16512                       // 00000000BEA8: DBFE4080 00000002
	ds_read_b128 a[4:7], v2 offset:16576                       // 00000000BEB0: DBFE40C0 04000002
	v_mfma_f32_16x16x32_fp8_fp8 v[144:147], a[150:151], a[70:71], v[144:147]// 00000000BEB8: D3F30090 1E428D96
	v_mfma_f32_16x16x32_fp8_fp8 v[176:179], a[152:153], a[64:65], v[176:179]// 00000000BEC0: D3F300B0 1EC28198
	buffer_load_dwordx4 a[132:135], v78, s[84:87], 0 offen offset:1024// 00000000BEC8: E05C1400 8095844E
	v_mfma_f32_16x16x32_fp8_fp8 v[176:179], a[154:155], a[66:67], v[176:179]// 00000000BED0: D3F300B0 1EC2859A
	v_mfma_f32_16x16x32_fp8_fp8 v[176:179], a[156:157], a[68:69], v[176:179]// 00000000BED8: D3F300B0 1EC2899C
	ds_read_b128 a[8:11], v2 offset:17024                      // 00000000BEE0: DBFE4280 08000002
	ds_read_b128 a[12:15], v2 offset:17088                     // 00000000BEE8: DBFE42C0 0C000002
	v_mfma_f32_16x16x32_fp8_fp8 v[176:179], a[158:159], a[70:71], v[176:179]// 00000000BEF0: D3F300B0 1EC28D9E
	v_mfma_f32_16x16x32_fp8_fp8 v[148:151], a[144:145], a[72:73], v[148:151]// 00000000BEF8: D3F30094 1E529190
	buffer_load_dwordx4 a[136:139], v79, s[84:87], 0 offen     // 00000000BF00: E05C1000 8095884F
	v_mfma_f32_16x16x32_fp8_fp8 v[148:151], a[146:147], a[74:75], v[148:151]// 00000000BF08: D3F30094 1E529592
	v_mfma_f32_16x16x32_fp8_fp8 v[148:151], a[148:149], a[76:77], v[148:151]// 00000000BF10: D3F30094 1E529994
	ds_read_b128 a[16:19], v2 offset:17536                     // 00000000BF18: DBFE4480 10000002
	ds_read_b128 a[20:23], v2 offset:17600                     // 00000000BF20: DBFE44C0 14000002
	v_mfma_f32_16x16x32_fp8_fp8 v[148:151], a[150:151], a[78:79], v[148:151]// 00000000BF28: D3F30094 1E529D96
	v_mfma_f32_16x16x32_fp8_fp8 v[180:183], a[152:153], a[72:73], v[180:183]// 00000000BF30: D3F300B4 1ED29198
	buffer_load_dwordx4 a[140:143], v79, s[84:87], 0 offen offset:1024// 00000000BF38: E05C1400 80958C4F
	v_mfma_f32_16x16x32_fp8_fp8 v[180:183], a[154:155], a[74:75], v[180:183]// 00000000BF40: D3F300B4 1ED2959A
	v_mfma_f32_16x16x32_fp8_fp8 v[180:183], a[156:157], a[76:77], v[180:183]// 00000000BF48: D3F300B4 1ED2999C
	ds_read_b128 a[24:27], v2 offset:18048                     // 00000000BF50: DBFE4680 18000002
	ds_read_b128 a[28:31], v2 offset:18112                     // 00000000BF58: DBFE46C0 1C000002
	v_mfma_f32_16x16x32_fp8_fp8 v[180:183], a[158:159], a[78:79], v[180:183]// 00000000BF60: D3F300B4 1ED29D9E
	v_mfma_f32_16x16x32_fp8_fp8 v[152:155], a[144:145], a[80:81], v[152:155]// 00000000BF68: D3F30098 1E62A190
	v_mfma_f32_16x16x32_fp8_fp8 v[152:155], a[146:147], a[82:83], v[152:155]// 00000000BF70: D3F30098 1E62A592
	v_mfma_f32_16x16x32_fp8_fp8 v[152:155], a[148:149], a[84:85], v[152:155]// 00000000BF78: D3F30098 1E62A994
	ds_read_b128 a[32:35], v2 offset:18560                     // 00000000BF80: DBFE4880 20000002
	ds_read_b128 a[36:39], v2 offset:18624                     // 00000000BF88: DBFE48C0 24000002
	v_mfma_f32_16x16x32_fp8_fp8 v[152:155], a[150:151], a[86:87], v[152:155]// 00000000BF90: D3F30098 1E62AD96
	v_mfma_f32_16x16x32_fp8_fp8 v[184:187], a[152:153], a[80:81], v[184:187]// 00000000BF98: D3F300B8 1EE2A198
	v_mfma_f32_16x16x32_fp8_fp8 v[184:187], a[154:155], a[82:83], v[184:187]// 00000000BFA0: D3F300B8 1EE2A59A
	v_mfma_f32_16x16x32_fp8_fp8 v[184:187], a[156:157], a[84:85], v[184:187]// 00000000BFA8: D3F300B8 1EE2A99C
	ds_read_b128 a[40:43], v2 offset:19072                     // 00000000BFB0: DBFE4A80 28000002
	ds_read_b128 a[44:47], v2 offset:19136                     // 00000000BFB8: DBFE4AC0 2C000002
	v_mfma_f32_16x16x32_fp8_fp8 v[184:187], a[158:159], a[86:87], v[184:187]// 00000000BFC0: D3F300B8 1EE2AD9E
	v_mfma_f32_16x16x32_fp8_fp8 v[156:159], a[144:145], a[88:89], v[156:159]// 00000000BFC8: D3F3009C 1E72B190
	v_mfma_f32_16x16x32_fp8_fp8 v[156:159], a[146:147], a[90:91], v[156:159]// 00000000BFD0: D3F3009C 1E72B592
	v_mfma_f32_16x16x32_fp8_fp8 v[156:159], a[148:149], a[92:93], v[156:159]// 00000000BFD8: D3F3009C 1E72B994
	ds_read_b128 a[48:51], v2 offset:19584                     // 00000000BFE0: DBFE4C80 30000002
	ds_read_b128 a[52:55], v2 offset:19648                     // 00000000BFE8: DBFE4CC0 34000002
	v_mfma_f32_16x16x32_fp8_fp8 v[156:159], a[150:151], a[94:95], v[156:159]// 00000000BFF0: D3F3009C 1E72BD96
	v_mfma_f32_16x16x32_fp8_fp8 v[188:191], a[152:153], a[88:89], v[188:191]// 00000000BFF8: D3F300BC 1EF2B198
	v_mfma_f32_16x16x32_fp8_fp8 v[188:191], a[154:155], a[90:91], v[188:191]// 00000000C000: D3F300BC 1EF2B59A
	v_mfma_f32_16x16x32_fp8_fp8 v[188:191], a[156:157], a[92:93], v[188:191]// 00000000C008: D3F300BC 1EF2B99C
	ds_read_b128 a[56:59], v2 offset:20096                     // 00000000C010: DBFE4E80 38000002
	ds_read_b128 a[60:63], v2 offset:20160                     // 00000000C018: DBFE4EC0 3C000002
	v_mfma_f32_16x16x32_fp8_fp8 v[188:191], a[158:159], a[94:95], v[188:191]// 00000000C020: D3F300BC 1EF2BD9E
	v_mfma_f32_16x16x32_fp8_fp8 v[160:163], a[144:145], a[96:97], v[160:163]// 00000000C028: D3F300A0 1E82C190
	v_mfma_f32_16x16x32_fp8_fp8 v[160:163], a[146:147], a[98:99], v[160:163]// 00000000C030: D3F300A0 1E82C592
	v_mfma_f32_16x16x32_fp8_fp8 v[160:163], a[148:149], a[100:101], v[160:163]// 00000000C038: D3F300A0 1E82C994
	v_mfma_f32_16x16x32_fp8_fp8 v[160:163], a[150:151], a[102:103], v[160:163]// 00000000C040: D3F300A0 1E82CD96
	v_mfma_f32_16x16x32_fp8_fp8 v[192:195], a[152:153], a[96:97], v[192:195]// 00000000C048: D3F300C0 1F02C198
	v_mfma_f32_16x16x32_fp8_fp8 v[192:195], a[154:155], a[98:99], v[192:195]// 00000000C050: D3F300C0 1F02C59A
	v_mfma_f32_16x16x32_fp8_fp8 v[192:195], a[156:157], a[100:101], v[192:195]// 00000000C058: D3F300C0 1F02C99C
	v_mfma_f32_16x16x32_fp8_fp8 v[192:195], a[158:159], a[102:103], v[192:195]// 00000000C060: D3F300C0 1F02CD9E
	v_mfma_f32_16x16x32_fp8_fp8 v[164:167], a[144:145], a[104:105], v[164:167]// 00000000C068: D3F300A4 1E92D190
	v_mfma_f32_16x16x32_fp8_fp8 v[164:167], a[146:147], a[106:107], v[164:167]// 00000000C070: D3F300A4 1E92D592
	v_mfma_f32_16x16x32_fp8_fp8 v[164:167], a[148:149], a[108:109], v[164:167]// 00000000C078: D3F300A4 1E92D994
	v_mfma_f32_16x16x32_fp8_fp8 v[164:167], a[150:151], a[110:111], v[164:167]// 00000000C080: D3F300A4 1E92DD96
	v_mfma_f32_16x16x32_fp8_fp8 v[196:199], a[152:153], a[104:105], v[196:199]// 00000000C088: D3F300C4 1F12D198
	v_mfma_f32_16x16x32_fp8_fp8 v[196:199], a[154:155], a[106:107], v[196:199]// 00000000C090: D3F300C4 1F12D59A
	v_mfma_f32_16x16x32_fp8_fp8 v[196:199], a[156:157], a[108:109], v[196:199]// 00000000C098: D3F300C4 1F12D99C
	v_mfma_f32_16x16x32_fp8_fp8 v[196:199], a[158:159], a[110:111], v[196:199]// 00000000C0A0: D3F300C4 1F12DD9E
	v_mfma_f32_16x16x32_fp8_fp8 v[168:171], a[144:145], a[112:113], v[168:171]// 00000000C0A8: D3F300A8 1EA2E190
	v_mfma_f32_16x16x32_fp8_fp8 v[168:171], a[146:147], a[114:115], v[168:171]// 00000000C0B0: D3F300A8 1EA2E592
	v_mfma_f32_16x16x32_fp8_fp8 v[168:171], a[148:149], a[116:117], v[168:171]// 00000000C0B8: D3F300A8 1EA2E994
	v_mfma_f32_16x16x32_fp8_fp8 v[168:171], a[150:151], a[118:119], v[168:171]// 00000000C0C0: D3F300A8 1EA2ED96
	v_mfma_f32_16x16x32_fp8_fp8 v[200:203], a[152:153], a[112:113], v[200:203]// 00000000C0C8: D3F300C8 1F22E198
	v_mfma_f32_16x16x32_fp8_fp8 v[200:203], a[154:155], a[114:115], v[200:203]// 00000000C0D0: D3F300C8 1F22E59A
	v_mfma_f32_16x16x32_fp8_fp8 v[200:203], a[156:157], a[116:117], v[200:203]// 00000000C0D8: D3F300C8 1F22E99C
	v_mfma_f32_16x16x32_fp8_fp8 v[200:203], a[158:159], a[118:119], v[200:203]// 00000000C0E0: D3F300C8 1F22ED9E
	v_mfma_f32_16x16x32_fp8_fp8 v[172:175], a[144:145], a[120:121], v[172:175]// 00000000C0E8: D3F300AC 1EB2F190
	s_add_u32 s60, 0x180, s80                                  // 00000000C0F0: 803C50FF 00000180
	s_cmp_lt_u32 s60, s81                                      // 00000000C0F8: BF0A513C
	s_cselect_b32 s57, s57, 0                                  // 00000000C0FC: 85398039
	v_mfma_f32_16x16x32_fp8_fp8 v[172:175], a[146:147], a[122:123], v[172:175]// 00000000C100: D3F300AC 1EB2F592
	s_add_u32 s60, 0x100, s80                                  // 00000000C108: 803C50FF 00000100
	s_cmp_lt_u32 s60, s81                                      // 00000000C110: BF0A513C
	s_cselect_b32 s58, s58, 0                                  // 00000000C114: 853A803A
	v_mfma_f32_16x16x32_fp8_fp8 v[172:175], a[148:149], a[124:125], v[172:175]// 00000000C118: D3F300AC 1EB2F994
	s_add_u32 s60, 0x100, s80                                  // 00000000C120: 803C50FF 00000100
	s_cmp_lt_u32 s60, s81                                      // 00000000C128: BF0A513C
	s_cselect_b32 s83, s83, 0                                  // 00000000C12C: 85538053
	v_mfma_f32_16x16x32_fp8_fp8 v[172:175], a[150:151], a[126:127], v[172:175]// 00000000C130: D3F300AC 1EB2FD96
	s_add_u32 s24, s58, s24                                    // 00000000C138: 8018183A
	s_addc_u32 s25, 0, s25                                     // 00000000C13C: 82191980
	v_mfma_f32_16x16x32_fp8_fp8 v[204:207], a[152:153], a[120:121], v[204:207]// 00000000C140: D3F300CC 1F32F198
	s_add_u32 s20, s57, s20                                    // 00000000C148: 80141439
	s_addc_u32 s21, 0, s21                                     // 00000000C14C: 82151580
	v_mfma_f32_16x16x32_fp8_fp8 v[204:207], a[154:155], a[122:123], v[204:207]// 00000000C150: D3F300CC 1F32F59A
	s_add_u32 s84, s83, s84                                    // 00000000C158: 80545453
	s_addc_u32 s85, 0, s85                                     // 00000000C15C: 82555580
	v_mfma_f32_16x16x32_fp8_fp8 v[204:207], a[156:157], a[124:125], v[204:207]// 00000000C160: D3F300CC 1F32F99C
	v_mfma_f32_16x16x32_fp8_fp8 v[204:207], a[158:159], a[126:127], v[204:207]// 00000000C168: D3F300CC 1F32FD9E
	s_addk_i32 s80, 0x80                                       // 00000000C170: B7500080
	s_cmp_lt_i32 s80, s81                                      // 00000000C174: BF045150
	s_cbranch_scc0 label_28F1                                  // 00000000C178: BF84030F
	s_waitcnt vmcnt(20) lgkmcnt(0)                             // 00000000C17C: BF8C4074
	v_mfma_f32_16x16x32_fp8_fp8 v[80:83], a[160:161], a[0:1], v[80:83]// 00000000C180: D3F30050 1D4201A0
	buffer_load_dwordx4 a[144:147], v78, s[24:27], 0 offen     // 00000000C188: E05C1000 8086904E
	v_mfma_f32_16x16x32_fp8_fp8 v[80:83], a[162:163], a[2:3], v[80:83]// 00000000C190: D3F30050 1D4205A2
	v_mfma_f32_16x16x32_fp8_fp8 v[80:83], a[164:165], a[4:5], v[80:83]// 00000000C198: D3F30050 1D4209A4
	v_mfma_f32_16x16x32_fp8_fp8 v[80:83], a[166:167], a[6:7], v[80:83]// 00000000C1A0: D3F30050 1D420DA6
	v_mfma_f32_16x16x32_fp8_fp8 v[112:115], a[168:169], a[0:1], v[112:115]// 00000000C1A8: D3F30070 1DC201A8
	buffer_load_dwordx4 a[148:151], v78, s[24:27], 0 offen offset:1024// 00000000C1B0: E05C1400 8086944E
	v_mfma_f32_16x16x32_fp8_fp8 v[112:115], a[170:171], a[2:3], v[112:115]// 00000000C1B8: D3F30070 1DC205AA
	v_mfma_f32_16x16x32_fp8_fp8 v[112:115], a[172:173], a[4:5], v[112:115]// 00000000C1C0: D3F30070 1DC209AC
	v_mfma_f32_16x16x32_fp8_fp8 v[112:115], a[174:175], a[6:7], v[112:115]// 00000000C1C8: D3F30070 1DC20DAE
	v_mfma_f32_16x16x32_fp8_fp8 v[84:87], a[160:161], a[8:9], v[84:87]// 00000000C1D0: D3F30054 1D5211A0
	buffer_load_dwordx4 a[152:155], v79, s[24:27], 0 offen     // 00000000C1D8: E05C1000 8086984F
	v_mfma_f32_16x16x32_fp8_fp8 v[84:87], a[162:163], a[10:11], v[84:87]// 00000000C1E0: D3F30054 1D5215A2
	v_mfma_f32_16x16x32_fp8_fp8 v[84:87], a[164:165], a[12:13], v[84:87]// 00000000C1E8: D3F30054 1D5219A4
	v_mfma_f32_16x16x32_fp8_fp8 v[84:87], a[166:167], a[14:15], v[84:87]// 00000000C1F0: D3F30054 1D521DA6
	v_mfma_f32_16x16x32_fp8_fp8 v[116:119], a[168:169], a[8:9], v[116:119]// 00000000C1F8: D3F30074 1DD211A8
	buffer_load_dwordx4 a[156:159], v79, s[24:27], 0 offen offset:1024// 00000000C200: E05C1400 80869C4F
	buffer_load_dword v62, s[20:23], 0 offen lds               // 00000000C208: E0511000 8005003E
	s_add_u32 m0, 0x100, s48                                   // 00000000C210: 807C30FF 00000100
	v_mfma_f32_16x16x32_fp8_fp8 v[116:119], a[170:171], a[10:11], v[116:119]// 00000000C218: D3F30074 1DD215AA
	v_mfma_f32_16x16x32_fp8_fp8 v[116:119], a[172:173], a[12:13], v[116:119]// 00000000C220: D3F30074 1DD219AC
	buffer_load_dword v63, s[20:23], 0 offen lds               // 00000000C228: E0511000 8005003F
	s_add_u32 m0, 0x200, s48                                   // 00000000C230: 807C30FF 00000200
	v_mfma_f32_16x16x32_fp8_fp8 v[116:119], a[174:175], a[14:15], v[116:119]// 00000000C238: D3F30074 1DD21DAE
	v_mfma_f32_16x16x32_fp8_fp8 v[88:91], a[160:161], a[16:17], v[88:91]// 00000000C240: D3F30058 1D6221A0
	buffer_load_dword v64, s[20:23], 0 offen lds               // 00000000C248: E0511000 80050040
	s_add_u32 m0, 0x300, s48                                   // 00000000C250: 807C30FF 00000300
	v_mfma_f32_16x16x32_fp8_fp8 v[88:91], a[162:163], a[18:19], v[88:91]// 00000000C258: D3F30058 1D6225A2
	v_mfma_f32_16x16x32_fp8_fp8 v[88:91], a[164:165], a[20:21], v[88:91]// 00000000C260: D3F30058 1D6229A4
	buffer_load_dword v65, s[20:23], 0 offen lds               // 00000000C268: E0511000 80050041
	s_add_u32 m0, 0x400, s48                                   // 00000000C270: 807C30FF 00000400
	v_mfma_f32_16x16x32_fp8_fp8 v[88:91], a[166:167], a[22:23], v[88:91]// 00000000C278: D3F30058 1D622DA6
	v_mfma_f32_16x16x32_fp8_fp8 v[120:123], a[168:169], a[16:17], v[120:123]// 00000000C280: D3F30078 1DE221A8
	buffer_load_dword v66, s[20:23], 0 offen lds               // 00000000C288: E0511000 80050042
	s_add_u32 m0, 0x500, s48                                   // 00000000C290: 807C30FF 00000500
	v_mfma_f32_16x16x32_fp8_fp8 v[120:123], a[170:171], a[18:19], v[120:123]// 00000000C298: D3F30078 1DE225AA
	v_mfma_f32_16x16x32_fp8_fp8 v[120:123], a[172:173], a[20:21], v[120:123]// 00000000C2A0: D3F30078 1DE229AC
	buffer_load_dword v67, s[20:23], 0 offen lds               // 00000000C2A8: E0511000 80050043
	s_add_u32 m0, 0x600, s48                                   // 00000000C2B0: 807C30FF 00000600
	v_mfma_f32_16x16x32_fp8_fp8 v[120:123], a[174:175], a[22:23], v[120:123]// 00000000C2B8: D3F30078 1DE22DAE
	v_mfma_f32_16x16x32_fp8_fp8 v[92:95], a[160:161], a[24:25], v[92:95]// 00000000C2C0: D3F3005C 1D7231A0
	buffer_load_dword v68, s[20:23], 0 offen lds               // 00000000C2C8: E0511000 80050044
	s_add_u32 m0, 0x700, s48                                   // 00000000C2D0: 807C30FF 00000700
	v_mfma_f32_16x16x32_fp8_fp8 v[92:95], a[162:163], a[26:27], v[92:95]// 00000000C2D8: D3F3005C 1D7235A2
	v_mfma_f32_16x16x32_fp8_fp8 v[92:95], a[164:165], a[28:29], v[92:95]// 00000000C2E0: D3F3005C 1D7239A4
	buffer_load_dword v69, s[20:23], 0 offen lds               // 00000000C2E8: E0511000 80050045
	s_add_u32 m0, 0x800, s48                                   // 00000000C2F0: 807C30FF 00000800
	v_mfma_f32_16x16x32_fp8_fp8 v[92:95], a[166:167], a[30:31], v[92:95]// 00000000C2F8: D3F3005C 1D723DA6
	v_mfma_f32_16x16x32_fp8_fp8 v[124:127], a[168:169], a[24:25], v[124:127]// 00000000C300: D3F3007C 1DF231A8
	buffer_load_dword v70, s[20:23], 0 offen lds               // 00000000C308: E0511000 80050046
	s_add_u32 m0, 0x900, s48                                   // 00000000C310: 807C30FF 00000900
	v_mfma_f32_16x16x32_fp8_fp8 v[124:127], a[170:171], a[26:27], v[124:127]// 00000000C318: D3F3007C 1DF235AA
	v_mfma_f32_16x16x32_fp8_fp8 v[124:127], a[172:173], a[28:29], v[124:127]// 00000000C320: D3F3007C 1DF239AC
	buffer_load_dword v71, s[20:23], 0 offen lds               // 00000000C328: E0511000 80050047
	s_add_u32 m0, 0xa00, s48                                   // 00000000C330: 807C30FF 00000A00
	v_mfma_f32_16x16x32_fp8_fp8 v[124:127], a[174:175], a[30:31], v[124:127]// 00000000C338: D3F3007C 1DF23DAE
	v_mfma_f32_16x16x32_fp8_fp8 v[96:99], a[160:161], a[32:33], v[96:99]// 00000000C340: D3F30060 1D8241A0
	v_mfma_f32_16x16x32_fp8_fp8 v[96:99], a[162:163], a[34:35], v[96:99]// 00000000C348: D3F30060 1D8245A2
	v_mfma_f32_16x16x32_fp8_fp8 v[96:99], a[164:165], a[36:37], v[96:99]// 00000000C350: D3F30060 1D8249A4
	v_mfma_f32_16x16x32_fp8_fp8 v[96:99], a[166:167], a[38:39], v[96:99]// 00000000C358: D3F30060 1D824DA6
	v_mfma_f32_16x16x32_fp8_fp8 v[128:131], a[168:169], a[32:33], v[128:131]// 00000000C360: D3F30080 1E0241A8
	v_mfma_f32_16x16x32_fp8_fp8 v[128:131], a[170:171], a[34:35], v[128:131]// 00000000C368: D3F30080 1E0245AA
	v_mfma_f32_16x16x32_fp8_fp8 v[128:131], a[172:173], a[36:37], v[128:131]// 00000000C370: D3F30080 1E0249AC
	v_mfma_f32_16x16x32_fp8_fp8 v[128:131], a[174:175], a[38:39], v[128:131]// 00000000C378: D3F30080 1E024DAE
	v_mfma_f32_16x16x32_fp8_fp8 v[100:103], a[160:161], a[40:41], v[100:103]// 00000000C380: D3F30064 1D9251A0
	buffer_load_dword v72, s[20:23], 0 offen lds               // 00000000C388: E0511000 80050048
	s_add_u32 m0, 0xb00, s48                                   // 00000000C390: 807C30FF 00000B00
	v_mfma_f32_16x16x32_fp8_fp8 v[100:103], a[162:163], a[42:43], v[100:103]// 00000000C398: D3F30064 1D9255A2
	v_mfma_f32_16x16x32_fp8_fp8 v[100:103], a[164:165], a[44:45], v[100:103]// 00000000C3A0: D3F30064 1D9259A4
	buffer_load_dword v73, s[20:23], 0 offen lds               // 00000000C3A8: E0511000 80050049
	s_add_u32 m0, 0xc00, s48                                   // 00000000C3B0: 807C30FF 00000C00
	v_mfma_f32_16x16x32_fp8_fp8 v[100:103], a[166:167], a[46:47], v[100:103]// 00000000C3B8: D3F30064 1D925DA6
	v_mfma_f32_16x16x32_fp8_fp8 v[132:135], a[168:169], a[40:41], v[132:135]// 00000000C3C0: D3F30084 1E1251A8
	buffer_load_dword v74, s[20:23], 0 offen lds               // 00000000C3C8: E0511000 8005004A
	s_add_u32 m0, 0xd00, s48                                   // 00000000C3D0: 807C30FF 00000D00
	v_mfma_f32_16x16x32_fp8_fp8 v[132:135], a[170:171], a[42:43], v[132:135]// 00000000C3D8: D3F30084 1E1255AA
	v_mfma_f32_16x16x32_fp8_fp8 v[132:135], a[172:173], a[44:45], v[132:135]// 00000000C3E0: D3F30084 1E1259AC
	buffer_load_dword v75, s[20:23], 0 offen lds               // 00000000C3E8: E0511000 8005004B
	s_add_u32 m0, 0xe00, s48                                   // 00000000C3F0: 807C30FF 00000E00
	v_mfma_f32_16x16x32_fp8_fp8 v[132:135], a[174:175], a[46:47], v[132:135]// 00000000C3F8: D3F30084 1E125DAE
	v_mfma_f32_16x16x32_fp8_fp8 v[104:107], a[160:161], a[48:49], v[104:107]// 00000000C400: D3F30068 1DA261A0
	v_mfma_f32_16x16x32_fp8_fp8 v[104:107], a[162:163], a[50:51], v[104:107]// 00000000C408: D3F30068 1DA265A2
	v_mfma_f32_16x16x32_fp8_fp8 v[104:107], a[164:165], a[52:53], v[104:107]// 00000000C410: D3F30068 1DA269A4
	v_mfma_f32_16x16x32_fp8_fp8 v[104:107], a[166:167], a[54:55], v[104:107]// 00000000C418: D3F30068 1DA26DA6
	v_mfma_f32_16x16x32_fp8_fp8 v[136:139], a[168:169], a[48:49], v[136:139]// 00000000C420: D3F30088 1E2261A8
	v_mfma_f32_16x16x32_fp8_fp8 v[136:139], a[170:171], a[50:51], v[136:139]// 00000000C428: D3F30088 1E2265AA
	v_mfma_f32_16x16x32_fp8_fp8 v[136:139], a[172:173], a[52:53], v[136:139]// 00000000C430: D3F30088 1E2269AC
	v_mfma_f32_16x16x32_fp8_fp8 v[136:139], a[174:175], a[54:55], v[136:139]// 00000000C438: D3F30088 1E226DAE
	v_mfma_f32_16x16x32_fp8_fp8 v[108:111], a[160:161], a[56:57], v[108:111]// 00000000C440: D3F3006C 1DB271A0
	buffer_load_dword v76, s[20:23], 0 offen lds               // 00000000C448: E0511000 8005004C
	s_add_u32 m0, 0xf00, s48                                   // 00000000C450: 807C30FF 00000F00
	v_mfma_f32_16x16x32_fp8_fp8 v[108:111], a[162:163], a[58:59], v[108:111]// 00000000C458: D3F3006C 1DB275A2
	v_mfma_f32_16x16x32_fp8_fp8 v[108:111], a[164:165], a[60:61], v[108:111]// 00000000C460: D3F3006C 1DB279A4
	buffer_load_dword v77, s[20:23], 0 offen lds               // 00000000C468: E0511000 8005004D
	s_add_u32 m0, 0, s49                                       // 00000000C470: 807C3180
	v_mfma_f32_16x16x32_fp8_fp8 v[108:111], a[166:167], a[62:63], v[108:111]// 00000000C474: D3F3006C 1DB27DA6
	v_mfma_f32_16x16x32_fp8_fp8 v[140:143], a[168:169], a[56:57], v[140:143]// 00000000C47C: D3F3008C 1E3271A8
	v_mfma_f32_16x16x32_fp8_fp8 v[140:143], a[170:171], a[58:59], v[140:143]// 00000000C484: D3F3008C 1E3275AA
	v_mfma_f32_16x16x32_fp8_fp8 v[140:143], a[172:173], a[60:61], v[140:143]// 00000000C48C: D3F3008C 1E3279AC
	v_mfma_f32_16x16x32_fp8_fp8 v[140:143], a[174:175], a[62:63], v[140:143]// 00000000C494: D3F3008C 1E327DAE
	s_waitcnt vmcnt(20)                                        // 00000000C49C: BF8C4F74
	s_barrier                                                  // 00000000C4A0: BF8A0000
	v_mfma_f32_16x16x32_fp8_fp8 v[144:147], a[128:129], a[0:1], v[144:147]// 00000000C4A4: D3F30090 1E420180
	buffer_load_dwordx4 a[160:163], v78, s[84:87], 0 offen     // 00000000C4AC: E05C1000 8095A04E
	v_mfma_f32_16x16x32_fp8_fp8 v[144:147], a[130:131], a[2:3], v[144:147]// 00000000C4B4: D3F30090 1E420582
	v_mfma_f32_16x16x32_fp8_fp8 v[144:147], a[132:133], a[4:5], v[144:147]// 00000000C4BC: D3F30090 1E420984
	ds_read_b128 a[64:67], v2 offset:33024                     // 00000000C4C4: DBFE8100 40000002
	ds_read_b128 a[68:71], v2 offset:33088                     // 00000000C4CC: DBFE8140 44000002
	v_mfma_f32_16x16x32_fp8_fp8 v[144:147], a[134:135], a[6:7], v[144:147]// 00000000C4D4: D3F30090 1E420D86
	v_mfma_f32_16x16x32_fp8_fp8 v[176:179], a[136:137], a[0:1], v[176:179]// 00000000C4DC: D3F300B0 1EC20188
	buffer_load_dwordx4 a[164:167], v78, s[84:87], 0 offen offset:1024// 00000000C4E4: E05C1400 8095A44E
	v_mfma_f32_16x16x32_fp8_fp8 v[176:179], a[138:139], a[2:3], v[176:179]// 00000000C4EC: D3F300B0 1EC2058A
	v_mfma_f32_16x16x32_fp8_fp8 v[176:179], a[140:141], a[4:5], v[176:179]// 00000000C4F4: D3F300B0 1EC2098C
	ds_read_b128 a[72:75], v2 offset:33536                     // 00000000C4FC: DBFE8300 48000002
	ds_read_b128 a[76:79], v2 offset:33600                     // 00000000C504: DBFE8340 4C000002
	v_mfma_f32_16x16x32_fp8_fp8 v[176:179], a[142:143], a[6:7], v[176:179]// 00000000C50C: D3F300B0 1EC20D8E
	v_mfma_f32_16x16x32_fp8_fp8 v[148:151], a[128:129], a[8:9], v[148:151]// 00000000C514: D3F30094 1E521180
	buffer_load_dwordx4 a[168:171], v79, s[84:87], 0 offen     // 00000000C51C: E05C1000 8095A84F
	v_mfma_f32_16x16x32_fp8_fp8 v[148:151], a[130:131], a[10:11], v[148:151]// 00000000C524: D3F30094 1E521582
	v_mfma_f32_16x16x32_fp8_fp8 v[148:151], a[132:133], a[12:13], v[148:151]// 00000000C52C: D3F30094 1E521984
	ds_read_b128 a[80:83], v2 offset:34048                     // 00000000C534: DBFE8500 50000002
	ds_read_b128 a[84:87], v2 offset:34112                     // 00000000C53C: DBFE8540 54000002
	v_mfma_f32_16x16x32_fp8_fp8 v[148:151], a[134:135], a[14:15], v[148:151]// 00000000C544: D3F30094 1E521D86
	v_mfma_f32_16x16x32_fp8_fp8 v[180:183], a[136:137], a[8:9], v[180:183]// 00000000C54C: D3F300B4 1ED21188
	buffer_load_dwordx4 a[172:175], v79, s[84:87], 0 offen offset:1024// 00000000C554: E05C1400 8095AC4F
	v_mfma_f32_16x16x32_fp8_fp8 v[180:183], a[138:139], a[10:11], v[180:183]// 00000000C55C: D3F300B4 1ED2158A
	v_mfma_f32_16x16x32_fp8_fp8 v[180:183], a[140:141], a[12:13], v[180:183]// 00000000C564: D3F300B4 1ED2198C
	ds_read_b128 a[88:91], v2 offset:34560                     // 00000000C56C: DBFE8700 58000002
	ds_read_b128 a[92:95], v2 offset:34624                     // 00000000C574: DBFE8740 5C000002
	v_mfma_f32_16x16x32_fp8_fp8 v[180:183], a[142:143], a[14:15], v[180:183]// 00000000C57C: D3F300B4 1ED21D8E
	v_mfma_f32_16x16x32_fp8_fp8 v[152:155], a[128:129], a[16:17], v[152:155]// 00000000C584: D3F30098 1E622180
	v_mfma_f32_16x16x32_fp8_fp8 v[152:155], a[130:131], a[18:19], v[152:155]// 00000000C58C: D3F30098 1E622582
	v_mfma_f32_16x16x32_fp8_fp8 v[152:155], a[132:133], a[20:21], v[152:155]// 00000000C594: D3F30098 1E622984
	ds_read_b128 a[96:99], v2 offset:35072                     // 00000000C59C: DBFE8900 60000002
	ds_read_b128 a[100:103], v2 offset:35136                   // 00000000C5A4: DBFE8940 64000002
	v_mfma_f32_16x16x32_fp8_fp8 v[152:155], a[134:135], a[22:23], v[152:155]// 00000000C5AC: D3F30098 1E622D86
	v_mfma_f32_16x16x32_fp8_fp8 v[184:187], a[136:137], a[16:17], v[184:187]// 00000000C5B4: D3F300B8 1EE22188
	v_mfma_f32_16x16x32_fp8_fp8 v[184:187], a[138:139], a[18:19], v[184:187]// 00000000C5BC: D3F300B8 1EE2258A
	v_mfma_f32_16x16x32_fp8_fp8 v[184:187], a[140:141], a[20:21], v[184:187]// 00000000C5C4: D3F300B8 1EE2298C
	ds_read_b128 a[104:107], v2 offset:35584                   // 00000000C5CC: DBFE8B00 68000002
	ds_read_b128 a[108:111], v2 offset:35648                   // 00000000C5D4: DBFE8B40 6C000002
	v_mfma_f32_16x16x32_fp8_fp8 v[184:187], a[142:143], a[22:23], v[184:187]// 00000000C5DC: D3F300B8 1EE22D8E
	v_mfma_f32_16x16x32_fp8_fp8 v[156:159], a[128:129], a[24:25], v[156:159]// 00000000C5E4: D3F3009C 1E723180
	v_mfma_f32_16x16x32_fp8_fp8 v[156:159], a[130:131], a[26:27], v[156:159]// 00000000C5EC: D3F3009C 1E723582
	v_mfma_f32_16x16x32_fp8_fp8 v[156:159], a[132:133], a[28:29], v[156:159]// 00000000C5F4: D3F3009C 1E723984
	ds_read_b128 a[112:115], v2 offset:36096                   // 00000000C5FC: DBFE8D00 70000002
	ds_read_b128 a[116:119], v2 offset:36160                   // 00000000C604: DBFE8D40 74000002
	v_mfma_f32_16x16x32_fp8_fp8 v[156:159], a[134:135], a[30:31], v[156:159]// 00000000C60C: D3F3009C 1E723D86
	v_mfma_f32_16x16x32_fp8_fp8 v[188:191], a[136:137], a[24:25], v[188:191]// 00000000C614: D3F300BC 1EF23188
	v_mfma_f32_16x16x32_fp8_fp8 v[188:191], a[138:139], a[26:27], v[188:191]// 00000000C61C: D3F300BC 1EF2358A
	v_mfma_f32_16x16x32_fp8_fp8 v[188:191], a[140:141], a[28:29], v[188:191]// 00000000C624: D3F300BC 1EF2398C
	ds_read_b128 a[120:123], v2 offset:36608                   // 00000000C62C: DBFE8F00 78000002
	ds_read_b128 a[124:127], v2 offset:36672                   // 00000000C634: DBFE8F40 7C000002
	v_mfma_f32_16x16x32_fp8_fp8 v[188:191], a[142:143], a[30:31], v[188:191]// 00000000C63C: D3F300BC 1EF23D8E
	v_mfma_f32_16x16x32_fp8_fp8 v[160:163], a[128:129], a[32:33], v[160:163]// 00000000C644: D3F300A0 1E824180
	v_mfma_f32_16x16x32_fp8_fp8 v[160:163], a[130:131], a[34:35], v[160:163]// 00000000C64C: D3F300A0 1E824582
	v_mfma_f32_16x16x32_fp8_fp8 v[160:163], a[132:133], a[36:37], v[160:163]// 00000000C654: D3F300A0 1E824984
	v_mfma_f32_16x16x32_fp8_fp8 v[160:163], a[134:135], a[38:39], v[160:163]// 00000000C65C: D3F300A0 1E824D86
	v_mfma_f32_16x16x32_fp8_fp8 v[192:195], a[136:137], a[32:33], v[192:195]// 00000000C664: D3F300C0 1F024188
	v_mfma_f32_16x16x32_fp8_fp8 v[192:195], a[138:139], a[34:35], v[192:195]// 00000000C66C: D3F300C0 1F02458A
	v_mfma_f32_16x16x32_fp8_fp8 v[192:195], a[140:141], a[36:37], v[192:195]// 00000000C674: D3F300C0 1F02498C
	v_mfma_f32_16x16x32_fp8_fp8 v[192:195], a[142:143], a[38:39], v[192:195]// 00000000C67C: D3F300C0 1F024D8E
	v_mfma_f32_16x16x32_fp8_fp8 v[164:167], a[128:129], a[40:41], v[164:167]// 00000000C684: D3F300A4 1E925180
	v_mfma_f32_16x16x32_fp8_fp8 v[164:167], a[130:131], a[42:43], v[164:167]// 00000000C68C: D3F300A4 1E925582
	v_mfma_f32_16x16x32_fp8_fp8 v[164:167], a[132:133], a[44:45], v[164:167]// 00000000C694: D3F300A4 1E925984
	v_mfma_f32_16x16x32_fp8_fp8 v[164:167], a[134:135], a[46:47], v[164:167]// 00000000C69C: D3F300A4 1E925D86
	v_mfma_f32_16x16x32_fp8_fp8 v[196:199], a[136:137], a[40:41], v[196:199]// 00000000C6A4: D3F300C4 1F125188
	v_mfma_f32_16x16x32_fp8_fp8 v[196:199], a[138:139], a[42:43], v[196:199]// 00000000C6AC: D3F300C4 1F12558A
	v_mfma_f32_16x16x32_fp8_fp8 v[196:199], a[140:141], a[44:45], v[196:199]// 00000000C6B4: D3F300C4 1F12598C
	v_mfma_f32_16x16x32_fp8_fp8 v[196:199], a[142:143], a[46:47], v[196:199]// 00000000C6BC: D3F300C4 1F125D8E
	v_mfma_f32_16x16x32_fp8_fp8 v[168:171], a[128:129], a[48:49], v[168:171]// 00000000C6C4: D3F300A8 1EA26180
	v_mfma_f32_16x16x32_fp8_fp8 v[168:171], a[130:131], a[50:51], v[168:171]// 00000000C6CC: D3F300A8 1EA26582
	v_mfma_f32_16x16x32_fp8_fp8 v[168:171], a[132:133], a[52:53], v[168:171]// 00000000C6D4: D3F300A8 1EA26984
	v_mfma_f32_16x16x32_fp8_fp8 v[168:171], a[134:135], a[54:55], v[168:171]// 00000000C6DC: D3F300A8 1EA26D86
	v_mfma_f32_16x16x32_fp8_fp8 v[200:203], a[136:137], a[48:49], v[200:203]// 00000000C6E4: D3F300C8 1F226188
	v_mfma_f32_16x16x32_fp8_fp8 v[200:203], a[138:139], a[50:51], v[200:203]// 00000000C6EC: D3F300C8 1F22658A
	v_mfma_f32_16x16x32_fp8_fp8 v[200:203], a[140:141], a[52:53], v[200:203]// 00000000C6F4: D3F300C8 1F22698C
	v_mfma_f32_16x16x32_fp8_fp8 v[200:203], a[142:143], a[54:55], v[200:203]// 00000000C6FC: D3F300C8 1F226D8E
	v_mfma_f32_16x16x32_fp8_fp8 v[172:175], a[128:129], a[56:57], v[172:175]// 00000000C704: D3F300AC 1EB27180
	s_add_u32 s60, 0x180, s80                                  // 00000000C70C: 803C50FF 00000180
	s_cmp_lt_u32 s60, s81                                      // 00000000C714: BF0A513C
	s_cselect_b32 s57, s57, 0                                  // 00000000C718: 85398039
	v_mfma_f32_16x16x32_fp8_fp8 v[172:175], a[130:131], a[58:59], v[172:175]// 00000000C71C: D3F300AC 1EB27582
	s_add_u32 s60, 0x100, s80                                  // 00000000C724: 803C50FF 00000100
	s_cmp_lt_u32 s60, s81                                      // 00000000C72C: BF0A513C
	s_cselect_b32 s58, s58, 0                                  // 00000000C730: 853A803A
	v_mfma_f32_16x16x32_fp8_fp8 v[172:175], a[132:133], a[60:61], v[172:175]// 00000000C734: D3F300AC 1EB27984
	s_add_u32 s60, 0x100, s80                                  // 00000000C73C: 803C50FF 00000100
	s_cmp_lt_u32 s60, s81                                      // 00000000C744: BF0A513C
	s_cselect_b32 s83, s83, 0                                  // 00000000C748: 85538053
	v_mfma_f32_16x16x32_fp8_fp8 v[172:175], a[134:135], a[62:63], v[172:175]// 00000000C74C: D3F300AC 1EB27D86
	s_add_u32 s24, s58, s24                                    // 00000000C754: 8018183A
	s_addc_u32 s25, 0, s25                                     // 00000000C758: 82191980
	v_mfma_f32_16x16x32_fp8_fp8 v[204:207], a[136:137], a[56:57], v[204:207]// 00000000C75C: D3F300CC 1F327188
	s_add_u32 s20, s57, s20                                    // 00000000C764: 80141439
	s_addc_u32 s21, 0, s21                                     // 00000000C768: 82151580
	v_mfma_f32_16x16x32_fp8_fp8 v[204:207], a[138:139], a[58:59], v[204:207]// 00000000C76C: D3F300CC 1F32758A
	s_add_u32 s84, s83, s84                                    // 00000000C774: 80545453
	s_addc_u32 s85, 0, s85                                     // 00000000C778: 82555580
	v_mfma_f32_16x16x32_fp8_fp8 v[204:207], a[140:141], a[60:61], v[204:207]// 00000000C77C: D3F300CC 1F32798C
	v_mfma_f32_16x16x32_fp8_fp8 v[204:207], a[142:143], a[62:63], v[204:207]// 00000000C784: D3F300CC 1F327D8E
	s_addk_i32 s80, 0x80                                       // 00000000C78C: B7500080
	s_cmp_lt_i32 s80, s81                                      // 00000000C790: BF045150
	s_cbranch_scc0 label_28F1                                  // 00000000C794: BF840188
	s_waitcnt vmcnt(20) lgkmcnt(0)                             // 00000000C798: BF8C4074
	v_mfma_f32_16x16x32_fp8_fp8 v[80:83], a[144:145], a[64:65], v[80:83]// 00000000C79C: D3F30050 1D428190
	buffer_load_dwordx4 a[128:131], v78, s[24:27], 0 offen     // 00000000C7A4: E05C1000 8086804E
	v_mfma_f32_16x16x32_fp8_fp8 v[80:83], a[146:147], a[66:67], v[80:83]// 00000000C7AC: D3F30050 1D428592
	v_mfma_f32_16x16x32_fp8_fp8 v[80:83], a[148:149], a[68:69], v[80:83]// 00000000C7B4: D3F30050 1D428994
	v_mfma_f32_16x16x32_fp8_fp8 v[80:83], a[150:151], a[70:71], v[80:83]// 00000000C7BC: D3F30050 1D428D96
	v_mfma_f32_16x16x32_fp8_fp8 v[112:115], a[152:153], a[64:65], v[112:115]// 00000000C7C4: D3F30070 1DC28198
	buffer_load_dwordx4 a[132:135], v78, s[24:27], 0 offen offset:1024// 00000000C7CC: E05C1400 8086844E
	v_mfma_f32_16x16x32_fp8_fp8 v[112:115], a[154:155], a[66:67], v[112:115]// 00000000C7D4: D3F30070 1DC2859A
	v_mfma_f32_16x16x32_fp8_fp8 v[112:115], a[156:157], a[68:69], v[112:115]// 00000000C7DC: D3F30070 1DC2899C
	v_mfma_f32_16x16x32_fp8_fp8 v[112:115], a[158:159], a[70:71], v[112:115]// 00000000C7E4: D3F30070 1DC28D9E
	v_mfma_f32_16x16x32_fp8_fp8 v[84:87], a[144:145], a[72:73], v[84:87]// 00000000C7EC: D3F30054 1D529190
	buffer_load_dwordx4 a[136:139], v79, s[24:27], 0 offen     // 00000000C7F4: E05C1000 8086884F
	v_mfma_f32_16x16x32_fp8_fp8 v[84:87], a[146:147], a[74:75], v[84:87]// 00000000C7FC: D3F30054 1D529592
	v_mfma_f32_16x16x32_fp8_fp8 v[84:87], a[148:149], a[76:77], v[84:87]// 00000000C804: D3F30054 1D529994
	v_mfma_f32_16x16x32_fp8_fp8 v[84:87], a[150:151], a[78:79], v[84:87]// 00000000C80C: D3F30054 1D529D96
	v_mfma_f32_16x16x32_fp8_fp8 v[116:119], a[152:153], a[72:73], v[116:119]// 00000000C814: D3F30074 1DD29198
	buffer_load_dwordx4 a[140:143], v79, s[24:27], 0 offen offset:1024// 00000000C81C: E05C1400 80868C4F
	buffer_load_dword v62, s[20:23], 0 offen lds               // 00000000C824: E0511000 8005003E
	s_add_u32 m0, 0x100, s49                                   // 00000000C82C: 807C31FF 00000100
	v_mfma_f32_16x16x32_fp8_fp8 v[116:119], a[154:155], a[74:75], v[116:119]// 00000000C834: D3F30074 1DD2959A
	v_mfma_f32_16x16x32_fp8_fp8 v[116:119], a[156:157], a[76:77], v[116:119]// 00000000C83C: D3F30074 1DD2999C
	buffer_load_dword v63, s[20:23], 0 offen lds               // 00000000C844: E0511000 8005003F
	s_add_u32 m0, 0x200, s49                                   // 00000000C84C: 807C31FF 00000200
	v_mfma_f32_16x16x32_fp8_fp8 v[116:119], a[158:159], a[78:79], v[116:119]// 00000000C854: D3F30074 1DD29D9E
	v_mfma_f32_16x16x32_fp8_fp8 v[88:91], a[144:145], a[80:81], v[88:91]// 00000000C85C: D3F30058 1D62A190
	buffer_load_dword v64, s[20:23], 0 offen lds               // 00000000C864: E0511000 80050040
	s_add_u32 m0, 0x300, s49                                   // 00000000C86C: 807C31FF 00000300
	v_mfma_f32_16x16x32_fp8_fp8 v[88:91], a[146:147], a[82:83], v[88:91]// 00000000C874: D3F30058 1D62A592
	v_mfma_f32_16x16x32_fp8_fp8 v[88:91], a[148:149], a[84:85], v[88:91]// 00000000C87C: D3F30058 1D62A994
	buffer_load_dword v65, s[20:23], 0 offen lds               // 00000000C884: E0511000 80050041
	s_add_u32 m0, 0x400, s49                                   // 00000000C88C: 807C31FF 00000400
	v_mfma_f32_16x16x32_fp8_fp8 v[88:91], a[150:151], a[86:87], v[88:91]// 00000000C894: D3F30058 1D62AD96
	v_mfma_f32_16x16x32_fp8_fp8 v[120:123], a[152:153], a[80:81], v[120:123]// 00000000C89C: D3F30078 1DE2A198
	buffer_load_dword v66, s[20:23], 0 offen lds               // 00000000C8A4: E0511000 80050042
	s_add_u32 m0, 0x500, s49                                   // 00000000C8AC: 807C31FF 00000500
	v_mfma_f32_16x16x32_fp8_fp8 v[120:123], a[154:155], a[82:83], v[120:123]// 00000000C8B4: D3F30078 1DE2A59A
	v_mfma_f32_16x16x32_fp8_fp8 v[120:123], a[156:157], a[84:85], v[120:123]// 00000000C8BC: D3F30078 1DE2A99C
	buffer_load_dword v67, s[20:23], 0 offen lds               // 00000000C8C4: E0511000 80050043
	s_add_u32 m0, 0x600, s49                                   // 00000000C8CC: 807C31FF 00000600
	v_mfma_f32_16x16x32_fp8_fp8 v[120:123], a[158:159], a[86:87], v[120:123]// 00000000C8D4: D3F30078 1DE2AD9E
	v_mfma_f32_16x16x32_fp8_fp8 v[92:95], a[144:145], a[88:89], v[92:95]// 00000000C8DC: D3F3005C 1D72B190
	buffer_load_dword v68, s[20:23], 0 offen lds               // 00000000C8E4: E0511000 80050044
	s_add_u32 m0, 0x700, s49                                   // 00000000C8EC: 807C31FF 00000700
	v_mfma_f32_16x16x32_fp8_fp8 v[92:95], a[146:147], a[90:91], v[92:95]// 00000000C8F4: D3F3005C 1D72B592
	v_mfma_f32_16x16x32_fp8_fp8 v[92:95], a[148:149], a[92:93], v[92:95]// 00000000C8FC: D3F3005C 1D72B994
	buffer_load_dword v69, s[20:23], 0 offen lds               // 00000000C904: E0511000 80050045
	s_add_u32 m0, 0x800, s49                                   // 00000000C90C: 807C31FF 00000800
	v_mfma_f32_16x16x32_fp8_fp8 v[92:95], a[150:151], a[94:95], v[92:95]// 00000000C914: D3F3005C 1D72BD96
	v_mfma_f32_16x16x32_fp8_fp8 v[124:127], a[152:153], a[88:89], v[124:127]// 00000000C91C: D3F3007C 1DF2B198
	buffer_load_dword v70, s[20:23], 0 offen lds               // 00000000C924: E0511000 80050046
	s_add_u32 m0, 0x900, s49                                   // 00000000C92C: 807C31FF 00000900
	v_mfma_f32_16x16x32_fp8_fp8 v[124:127], a[154:155], a[90:91], v[124:127]// 00000000C934: D3F3007C 1DF2B59A
	v_mfma_f32_16x16x32_fp8_fp8 v[124:127], a[156:157], a[92:93], v[124:127]// 00000000C93C: D3F3007C 1DF2B99C
	buffer_load_dword v71, s[20:23], 0 offen lds               // 00000000C944: E0511000 80050047
	s_add_u32 m0, 0xa00, s49                                   // 00000000C94C: 807C31FF 00000A00
	v_mfma_f32_16x16x32_fp8_fp8 v[124:127], a[158:159], a[94:95], v[124:127]// 00000000C954: D3F3007C 1DF2BD9E
	v_mfma_f32_16x16x32_fp8_fp8 v[96:99], a[144:145], a[96:97], v[96:99]// 00000000C95C: D3F30060 1D82C190
	v_mfma_f32_16x16x32_fp8_fp8 v[96:99], a[146:147], a[98:99], v[96:99]// 00000000C964: D3F30060 1D82C592
	v_mfma_f32_16x16x32_fp8_fp8 v[96:99], a[148:149], a[100:101], v[96:99]// 00000000C96C: D3F30060 1D82C994
	v_mfma_f32_16x16x32_fp8_fp8 v[96:99], a[150:151], a[102:103], v[96:99]// 00000000C974: D3F30060 1D82CD96
	v_mfma_f32_16x16x32_fp8_fp8 v[128:131], a[152:153], a[96:97], v[128:131]// 00000000C97C: D3F30080 1E02C198
	v_mfma_f32_16x16x32_fp8_fp8 v[128:131], a[154:155], a[98:99], v[128:131]// 00000000C984: D3F30080 1E02C59A
	v_mfma_f32_16x16x32_fp8_fp8 v[128:131], a[156:157], a[100:101], v[128:131]// 00000000C98C: D3F30080 1E02C99C
	v_mfma_f32_16x16x32_fp8_fp8 v[128:131], a[158:159], a[102:103], v[128:131]// 00000000C994: D3F30080 1E02CD9E
	v_mfma_f32_16x16x32_fp8_fp8 v[100:103], a[144:145], a[104:105], v[100:103]// 00000000C99C: D3F30064 1D92D190
	buffer_load_dword v72, s[20:23], 0 offen lds               // 00000000C9A4: E0511000 80050048
	s_add_u32 m0, 0xb00, s49                                   // 00000000C9AC: 807C31FF 00000B00
	v_mfma_f32_16x16x32_fp8_fp8 v[100:103], a[146:147], a[106:107], v[100:103]// 00000000C9B4: D3F30064 1D92D592
	v_mfma_f32_16x16x32_fp8_fp8 v[100:103], a[148:149], a[108:109], v[100:103]// 00000000C9BC: D3F30064 1D92D994
	buffer_load_dword v73, s[20:23], 0 offen lds               // 00000000C9C4: E0511000 80050049
	s_add_u32 m0, 0xc00, s49                                   // 00000000C9CC: 807C31FF 00000C00
	v_mfma_f32_16x16x32_fp8_fp8 v[100:103], a[150:151], a[110:111], v[100:103]// 00000000C9D4: D3F30064 1D92DD96
	v_mfma_f32_16x16x32_fp8_fp8 v[132:135], a[152:153], a[104:105], v[132:135]// 00000000C9DC: D3F30084 1E12D198
	buffer_load_dword v74, s[20:23], 0 offen lds               // 00000000C9E4: E0511000 8005004A
	s_add_u32 m0, 0xd00, s49                                   // 00000000C9EC: 807C31FF 00000D00
	v_mfma_f32_16x16x32_fp8_fp8 v[132:135], a[154:155], a[106:107], v[132:135]// 00000000C9F4: D3F30084 1E12D59A
	v_mfma_f32_16x16x32_fp8_fp8 v[132:135], a[156:157], a[108:109], v[132:135]// 00000000C9FC: D3F30084 1E12D99C
	buffer_load_dword v75, s[20:23], 0 offen lds               // 00000000CA04: E0511000 8005004B
	s_add_u32 m0, 0xe00, s49                                   // 00000000CA0C: 807C31FF 00000E00
	v_mfma_f32_16x16x32_fp8_fp8 v[132:135], a[158:159], a[110:111], v[132:135]// 00000000CA14: D3F30084 1E12DD9E
	v_mfma_f32_16x16x32_fp8_fp8 v[104:107], a[144:145], a[112:113], v[104:107]// 00000000CA1C: D3F30068 1DA2E190
	v_mfma_f32_16x16x32_fp8_fp8 v[104:107], a[146:147], a[114:115], v[104:107]// 00000000CA24: D3F30068 1DA2E592
	v_mfma_f32_16x16x32_fp8_fp8 v[104:107], a[148:149], a[116:117], v[104:107]// 00000000CA2C: D3F30068 1DA2E994
	v_mfma_f32_16x16x32_fp8_fp8 v[104:107], a[150:151], a[118:119], v[104:107]// 00000000CA34: D3F30068 1DA2ED96
	v_mfma_f32_16x16x32_fp8_fp8 v[136:139], a[152:153], a[112:113], v[136:139]// 00000000CA3C: D3F30088 1E22E198
	v_mfma_f32_16x16x32_fp8_fp8 v[136:139], a[154:155], a[114:115], v[136:139]// 00000000CA44: D3F30088 1E22E59A
	v_mfma_f32_16x16x32_fp8_fp8 v[136:139], a[156:157], a[116:117], v[136:139]// 00000000CA4C: D3F30088 1E22E99C
	v_mfma_f32_16x16x32_fp8_fp8 v[136:139], a[158:159], a[118:119], v[136:139]// 00000000CA54: D3F30088 1E22ED9E
	v_mfma_f32_16x16x32_fp8_fp8 v[108:111], a[144:145], a[120:121], v[108:111]// 00000000CA5C: D3F3006C 1DB2F190
	buffer_load_dword v76, s[20:23], 0 offen lds               // 00000000CA64: E0511000 8005004C
	s_add_u32 m0, 0xf00, s49                                   // 00000000CA6C: 807C31FF 00000F00
	v_mfma_f32_16x16x32_fp8_fp8 v[108:111], a[146:147], a[122:123], v[108:111]// 00000000CA74: D3F3006C 1DB2F592
	v_mfma_f32_16x16x32_fp8_fp8 v[108:111], a[148:149], a[124:125], v[108:111]// 00000000CA7C: D3F3006C 1DB2F994
	buffer_load_dword v77, s[20:23], 0 offen lds               // 00000000CA84: E0511000 8005004D
	s_add_u32 m0, 0, s50                                       // 00000000CA8C: 807C3280
	v_mfma_f32_16x16x32_fp8_fp8 v[108:111], a[150:151], a[126:127], v[108:111]// 00000000CA90: D3F3006C 1DB2FD96
	v_mfma_f32_16x16x32_fp8_fp8 v[140:143], a[152:153], a[120:121], v[140:143]// 00000000CA98: D3F3008C 1E32F198
	v_mfma_f32_16x16x32_fp8_fp8 v[140:143], a[154:155], a[122:123], v[140:143]// 00000000CAA0: D3F3008C 1E32F59A
	v_mfma_f32_16x16x32_fp8_fp8 v[140:143], a[156:157], a[124:125], v[140:143]// 00000000CAA8: D3F3008C 1E32F99C
	v_mfma_f32_16x16x32_fp8_fp8 v[140:143], a[158:159], a[126:127], v[140:143]// 00000000CAB0: D3F3008C 1E32FD9E
	s_waitcnt vmcnt(20)                                        // 00000000CAB8: BF8C4F74
	s_barrier                                                  // 00000000CABC: BF8A0000
	v_mfma_f32_16x16x32_fp8_fp8 v[144:147], a[160:161], a[64:65], v[144:147]// 00000000CAC0: D3F30090 1E4281A0
	buffer_load_dwordx4 a[144:147], v78, s[84:87], 0 offen     // 00000000CAC8: E05C1000 8095904E
	v_mfma_f32_16x16x32_fp8_fp8 v[144:147], a[162:163], a[66:67], v[144:147]// 00000000CAD0: D3F30090 1E4285A2
	v_mfma_f32_16x16x32_fp8_fp8 v[144:147], a[164:165], a[68:69], v[144:147]// 00000000CAD8: D3F30090 1E4289A4
	ds_read_b128 a[0:3], v2                                    // 00000000CAE0: DBFE0000 00000002
	ds_read_b128 a[4:7], v2 offset:64                          // 00000000CAE8: DBFE0040 04000002
	v_mfma_f32_16x16x32_fp8_fp8 v[144:147], a[166:167], a[70:71], v[144:147]// 00000000CAF0: D3F30090 1E428DA6
	v_mfma_f32_16x16x32_fp8_fp8 v[176:179], a[168:169], a[64:65], v[176:179]// 00000000CAF8: D3F300B0 1EC281A8
	buffer_load_dwordx4 a[148:151], v78, s[84:87], 0 offen offset:1024// 00000000CB00: E05C1400 8095944E
	v_mfma_f32_16x16x32_fp8_fp8 v[176:179], a[170:171], a[66:67], v[176:179]// 00000000CB08: D3F300B0 1EC285AA
	v_mfma_f32_16x16x32_fp8_fp8 v[176:179], a[172:173], a[68:69], v[176:179]// 00000000CB10: D3F300B0 1EC289AC
	ds_read_b128 a[8:11], v2 offset:512                        // 00000000CB18: DBFE0200 08000002
	ds_read_b128 a[12:15], v2 offset:576                       // 00000000CB20: DBFE0240 0C000002
	v_mfma_f32_16x16x32_fp8_fp8 v[176:179], a[174:175], a[70:71], v[176:179]// 00000000CB28: D3F300B0 1EC28DAE
	v_mfma_f32_16x16x32_fp8_fp8 v[148:151], a[160:161], a[72:73], v[148:151]// 00000000CB30: D3F30094 1E5291A0
	buffer_load_dwordx4 a[152:155], v79, s[84:87], 0 offen     // 00000000CB38: E05C1000 8095984F
	v_mfma_f32_16x16x32_fp8_fp8 v[148:151], a[162:163], a[74:75], v[148:151]// 00000000CB40: D3F30094 1E5295A2
	v_mfma_f32_16x16x32_fp8_fp8 v[148:151], a[164:165], a[76:77], v[148:151]// 00000000CB48: D3F30094 1E5299A4
	ds_read_b128 a[16:19], v2 offset:1024                      // 00000000CB50: DBFE0400 10000002
	ds_read_b128 a[20:23], v2 offset:1088                      // 00000000CB58: DBFE0440 14000002
	v_mfma_f32_16x16x32_fp8_fp8 v[148:151], a[166:167], a[78:79], v[148:151]// 00000000CB60: D3F30094 1E529DA6
	v_mfma_f32_16x16x32_fp8_fp8 v[180:183], a[168:169], a[72:73], v[180:183]// 00000000CB68: D3F300B4 1ED291A8
	buffer_load_dwordx4 a[156:159], v79, s[84:87], 0 offen offset:1024// 00000000CB70: E05C1400 80959C4F
	v_mfma_f32_16x16x32_fp8_fp8 v[180:183], a[170:171], a[74:75], v[180:183]// 00000000CB78: D3F300B4 1ED295AA
	v_mfma_f32_16x16x32_fp8_fp8 v[180:183], a[172:173], a[76:77], v[180:183]// 00000000CB80: D3F300B4 1ED299AC
	ds_read_b128 a[24:27], v2 offset:1536                      // 00000000CB88: DBFE0600 18000002
	ds_read_b128 a[28:31], v2 offset:1600                      // 00000000CB90: DBFE0640 1C000002
	v_mfma_f32_16x16x32_fp8_fp8 v[180:183], a[174:175], a[78:79], v[180:183]// 00000000CB98: D3F300B4 1ED29DAE
	v_mfma_f32_16x16x32_fp8_fp8 v[152:155], a[160:161], a[80:81], v[152:155]// 00000000CBA0: D3F30098 1E62A1A0
	v_mfma_f32_16x16x32_fp8_fp8 v[152:155], a[162:163], a[82:83], v[152:155]// 00000000CBA8: D3F30098 1E62A5A2
	v_mfma_f32_16x16x32_fp8_fp8 v[152:155], a[164:165], a[84:85], v[152:155]// 00000000CBB0: D3F30098 1E62A9A4
	ds_read_b128 a[32:35], v2 offset:2048                      // 00000000CBB8: DBFE0800 20000002
	ds_read_b128 a[36:39], v2 offset:2112                      // 00000000CBC0: DBFE0840 24000002
	v_mfma_f32_16x16x32_fp8_fp8 v[152:155], a[166:167], a[86:87], v[152:155]// 00000000CBC8: D3F30098 1E62ADA6
	v_mfma_f32_16x16x32_fp8_fp8 v[184:187], a[168:169], a[80:81], v[184:187]// 00000000CBD0: D3F300B8 1EE2A1A8
	v_mfma_f32_16x16x32_fp8_fp8 v[184:187], a[170:171], a[82:83], v[184:187]// 00000000CBD8: D3F300B8 1EE2A5AA
	v_mfma_f32_16x16x32_fp8_fp8 v[184:187], a[172:173], a[84:85], v[184:187]// 00000000CBE0: D3F300B8 1EE2A9AC
	ds_read_b128 a[40:43], v2 offset:2560                      // 00000000CBE8: DBFE0A00 28000002
	ds_read_b128 a[44:47], v2 offset:2624                      // 00000000CBF0: DBFE0A40 2C000002
	v_mfma_f32_16x16x32_fp8_fp8 v[184:187], a[174:175], a[86:87], v[184:187]// 00000000CBF8: D3F300B8 1EE2ADAE
	v_mfma_f32_16x16x32_fp8_fp8 v[156:159], a[160:161], a[88:89], v[156:159]// 00000000CC00: D3F3009C 1E72B1A0
	v_mfma_f32_16x16x32_fp8_fp8 v[156:159], a[162:163], a[90:91], v[156:159]// 00000000CC08: D3F3009C 1E72B5A2
	v_mfma_f32_16x16x32_fp8_fp8 v[156:159], a[164:165], a[92:93], v[156:159]// 00000000CC10: D3F3009C 1E72B9A4
	ds_read_b128 a[48:51], v2 offset:3072                      // 00000000CC18: DBFE0C00 30000002
	ds_read_b128 a[52:55], v2 offset:3136                      // 00000000CC20: DBFE0C40 34000002
	v_mfma_f32_16x16x32_fp8_fp8 v[156:159], a[166:167], a[94:95], v[156:159]// 00000000CC28: D3F3009C 1E72BDA6
	v_mfma_f32_16x16x32_fp8_fp8 v[188:191], a[168:169], a[88:89], v[188:191]// 00000000CC30: D3F300BC 1EF2B1A8
	v_mfma_f32_16x16x32_fp8_fp8 v[188:191], a[170:171], a[90:91], v[188:191]// 00000000CC38: D3F300BC 1EF2B5AA
	v_mfma_f32_16x16x32_fp8_fp8 v[188:191], a[172:173], a[92:93], v[188:191]// 00000000CC40: D3F300BC 1EF2B9AC
	ds_read_b128 a[56:59], v2 offset:3584                      // 00000000CC48: DBFE0E00 38000002
	ds_read_b128 a[60:63], v2 offset:3648                      // 00000000CC50: DBFE0E40 3C000002
	v_mfma_f32_16x16x32_fp8_fp8 v[188:191], a[174:175], a[94:95], v[188:191]// 00000000CC58: D3F300BC 1EF2BDAE
	v_mfma_f32_16x16x32_fp8_fp8 v[160:163], a[160:161], a[96:97], v[160:163]// 00000000CC60: D3F300A0 1E82C1A0
	v_mfma_f32_16x16x32_fp8_fp8 v[160:163], a[162:163], a[98:99], v[160:163]// 00000000CC68: D3F300A0 1E82C5A2
	v_mfma_f32_16x16x32_fp8_fp8 v[160:163], a[164:165], a[100:101], v[160:163]// 00000000CC70: D3F300A0 1E82C9A4
	v_mfma_f32_16x16x32_fp8_fp8 v[160:163], a[166:167], a[102:103], v[160:163]// 00000000CC78: D3F300A0 1E82CDA6
	v_mfma_f32_16x16x32_fp8_fp8 v[192:195], a[168:169], a[96:97], v[192:195]// 00000000CC80: D3F300C0 1F02C1A8
	v_mfma_f32_16x16x32_fp8_fp8 v[192:195], a[170:171], a[98:99], v[192:195]// 00000000CC88: D3F300C0 1F02C5AA
	v_mfma_f32_16x16x32_fp8_fp8 v[192:195], a[172:173], a[100:101], v[192:195]// 00000000CC90: D3F300C0 1F02C9AC
	v_mfma_f32_16x16x32_fp8_fp8 v[192:195], a[174:175], a[102:103], v[192:195]// 00000000CC98: D3F300C0 1F02CDAE
	v_mfma_f32_16x16x32_fp8_fp8 v[164:167], a[160:161], a[104:105], v[164:167]// 00000000CCA0: D3F300A4 1E92D1A0
	v_mfma_f32_16x16x32_fp8_fp8 v[164:167], a[162:163], a[106:107], v[164:167]// 00000000CCA8: D3F300A4 1E92D5A2
	v_mfma_f32_16x16x32_fp8_fp8 v[164:167], a[164:165], a[108:109], v[164:167]// 00000000CCB0: D3F300A4 1E92D9A4
	v_mfma_f32_16x16x32_fp8_fp8 v[164:167], a[166:167], a[110:111], v[164:167]// 00000000CCB8: D3F300A4 1E92DDA6
	v_mfma_f32_16x16x32_fp8_fp8 v[196:199], a[168:169], a[104:105], v[196:199]// 00000000CCC0: D3F300C4 1F12D1A8
	v_mfma_f32_16x16x32_fp8_fp8 v[196:199], a[170:171], a[106:107], v[196:199]// 00000000CCC8: D3F300C4 1F12D5AA
	v_mfma_f32_16x16x32_fp8_fp8 v[196:199], a[172:173], a[108:109], v[196:199]// 00000000CCD0: D3F300C4 1F12D9AC
	v_mfma_f32_16x16x32_fp8_fp8 v[196:199], a[174:175], a[110:111], v[196:199]// 00000000CCD8: D3F300C4 1F12DDAE
	v_mfma_f32_16x16x32_fp8_fp8 v[168:171], a[160:161], a[112:113], v[168:171]// 00000000CCE0: D3F300A8 1EA2E1A0
	v_mfma_f32_16x16x32_fp8_fp8 v[168:171], a[162:163], a[114:115], v[168:171]// 00000000CCE8: D3F300A8 1EA2E5A2
	v_mfma_f32_16x16x32_fp8_fp8 v[168:171], a[164:165], a[116:117], v[168:171]// 00000000CCF0: D3F300A8 1EA2E9A4
	v_mfma_f32_16x16x32_fp8_fp8 v[168:171], a[166:167], a[118:119], v[168:171]// 00000000CCF8: D3F300A8 1EA2EDA6
	v_mfma_f32_16x16x32_fp8_fp8 v[200:203], a[168:169], a[112:113], v[200:203]// 00000000CD00: D3F300C8 1F22E1A8
	v_mfma_f32_16x16x32_fp8_fp8 v[200:203], a[170:171], a[114:115], v[200:203]// 00000000CD08: D3F300C8 1F22E5AA
	v_mfma_f32_16x16x32_fp8_fp8 v[200:203], a[172:173], a[116:117], v[200:203]// 00000000CD10: D3F300C8 1F22E9AC
	v_mfma_f32_16x16x32_fp8_fp8 v[200:203], a[174:175], a[118:119], v[200:203]// 00000000CD18: D3F300C8 1F22EDAE
	v_mfma_f32_16x16x32_fp8_fp8 v[172:175], a[160:161], a[120:121], v[172:175]// 00000000CD20: D3F300AC 1EB2F1A0
	s_add_u32 s60, 0x180, s80                                  // 00000000CD28: 803C50FF 00000180
	s_cmp_lt_u32 s60, s81                                      // 00000000CD30: BF0A513C
	s_cselect_b32 s57, s57, 0                                  // 00000000CD34: 85398039
	v_mfma_f32_16x16x32_fp8_fp8 v[172:175], a[162:163], a[122:123], v[172:175]// 00000000CD38: D3F300AC 1EB2F5A2
	s_add_u32 s60, 0x100, s80                                  // 00000000CD40: 803C50FF 00000100
	s_cmp_lt_u32 s60, s81                                      // 00000000CD48: BF0A513C
	s_cselect_b32 s58, s58, 0                                  // 00000000CD4C: 853A803A
	v_mfma_f32_16x16x32_fp8_fp8 v[172:175], a[164:165], a[124:125], v[172:175]// 00000000CD50: D3F300AC 1EB2F9A4
	s_add_u32 s60, 0x100, s80                                  // 00000000CD58: 803C50FF 00000100
	s_cmp_lt_u32 s60, s81                                      // 00000000CD60: BF0A513C
	s_cselect_b32 s83, s83, 0                                  // 00000000CD64: 85538053
	v_mfma_f32_16x16x32_fp8_fp8 v[172:175], a[166:167], a[126:127], v[172:175]// 00000000CD68: D3F300AC 1EB2FDA6
	s_add_u32 s24, s58, s24                                    // 00000000CD70: 8018183A
	s_addc_u32 s25, 0, s25                                     // 00000000CD74: 82191980
	v_mfma_f32_16x16x32_fp8_fp8 v[204:207], a[168:169], a[120:121], v[204:207]// 00000000CD78: D3F300CC 1F32F1A8
	s_add_u32 s20, s57, s20                                    // 00000000CD80: 80141439
	s_addc_u32 s21, 0, s21                                     // 00000000CD84: 82151580
	v_mfma_f32_16x16x32_fp8_fp8 v[204:207], a[170:171], a[122:123], v[204:207]// 00000000CD88: D3F300CC 1F32F5AA
	s_add_u32 s84, s83, s84                                    // 00000000CD90: 80545453
	s_addc_u32 s85, 0, s85                                     // 00000000CD94: 82555580
	v_mfma_f32_16x16x32_fp8_fp8 v[204:207], a[172:173], a[124:125], v[204:207]// 00000000CD98: D3F300CC 1F32F9AC
	v_mfma_f32_16x16x32_fp8_fp8 v[204:207], a[174:175], a[126:127], v[204:207]// 00000000CDA0: D3F300CC 1F32FDAE
	s_addk_i32 s80, 0x80                                       // 00000000CDA8: B7500080
	s_cmp_lt_i32 s80, s81                                      // 00000000CDAC: BF045150
	s_cbranch_scc0 label_28F1                                  // 00000000CDB0: BF840001
	s_branch label_1FC6                                        // 00000000CDB4: BF82F6D5

000000000000cdb8 <label_28F1>:
	v_mul_f32_dpp v80, v24, v80 row_newbcast:0 row_mask:0xf bank_mask:0xf// 00000000CDB8: 0AA0A0FA FF015018
	v_mul_f32_dpp v81, v24, v81 row_newbcast:1 row_mask:0xf bank_mask:0xf// 00000000CDC0: 0AA2A2FA FF015118
	v_mul_f32_dpp v82, v24, v82 row_newbcast:2 row_mask:0xf bank_mask:0xf// 00000000CDC8: 0AA4A4FA FF015218
	v_mul_f32_dpp v83, v24, v83 row_newbcast:3 row_mask:0xf bank_mask:0xf// 00000000CDD0: 0AA6A6FA FF015318
	v_mul_f32_dpp v84, v24, v84 row_newbcast:0 row_mask:0xf bank_mask:0xf// 00000000CDD8: 0AA8A8FA FF015018
	v_mul_f32_dpp v85, v24, v85 row_newbcast:1 row_mask:0xf bank_mask:0xf// 00000000CDE0: 0AAAAAFA FF015118
	v_mul_f32_dpp v86, v24, v86 row_newbcast:2 row_mask:0xf bank_mask:0xf// 00000000CDE8: 0AACACFA FF015218
	v_mul_f32_dpp v87, v24, v87 row_newbcast:3 row_mask:0xf bank_mask:0xf// 00000000CDF0: 0AAEAEFA FF015318
	v_mul_f32_dpp v88, v24, v88 row_newbcast:0 row_mask:0xf bank_mask:0xf// 00000000CDF8: 0AB0B0FA FF015018
	v_mul_f32_dpp v89, v24, v89 row_newbcast:1 row_mask:0xf bank_mask:0xf// 00000000CE00: 0AB2B2FA FF015118
	v_mul_f32_dpp v90, v24, v90 row_newbcast:2 row_mask:0xf bank_mask:0xf// 00000000CE08: 0AB4B4FA FF015218
	v_mul_f32_dpp v91, v24, v91 row_newbcast:3 row_mask:0xf bank_mask:0xf// 00000000CE10: 0AB6B6FA FF015318
	v_mul_f32_dpp v92, v24, v92 row_newbcast:0 row_mask:0xf bank_mask:0xf// 00000000CE18: 0AB8B8FA FF015018
	v_mul_f32_dpp v93, v24, v93 row_newbcast:1 row_mask:0xf bank_mask:0xf// 00000000CE20: 0ABABAFA FF015118
	v_mul_f32_dpp v94, v24, v94 row_newbcast:2 row_mask:0xf bank_mask:0xf// 00000000CE28: 0ABCBCFA FF015218
	v_mul_f32_dpp v95, v24, v95 row_newbcast:3 row_mask:0xf bank_mask:0xf// 00000000CE30: 0ABEBEFA FF015318
	v_mul_f32_dpp v96, v24, v96 row_newbcast:0 row_mask:0xf bank_mask:0xf// 00000000CE38: 0AC0C0FA FF015018
	v_mul_f32_dpp v97, v24, v97 row_newbcast:1 row_mask:0xf bank_mask:0xf// 00000000CE40: 0AC2C2FA FF015118
	v_mul_f32_dpp v98, v24, v98 row_newbcast:2 row_mask:0xf bank_mask:0xf// 00000000CE48: 0AC4C4FA FF015218
	v_mul_f32_dpp v99, v24, v99 row_newbcast:3 row_mask:0xf bank_mask:0xf// 00000000CE50: 0AC6C6FA FF015318
	v_mul_f32_dpp v100, v24, v100 row_newbcast:0 row_mask:0xf bank_mask:0xf// 00000000CE58: 0AC8C8FA FF015018
	v_mul_f32_dpp v101, v24, v101 row_newbcast:1 row_mask:0xf bank_mask:0xf// 00000000CE60: 0ACACAFA FF015118
	v_mul_f32_dpp v102, v24, v102 row_newbcast:2 row_mask:0xf bank_mask:0xf// 00000000CE68: 0ACCCCFA FF015218
	v_mul_f32_dpp v103, v24, v103 row_newbcast:3 row_mask:0xf bank_mask:0xf// 00000000CE70: 0ACECEFA FF015318
	v_mul_f32_dpp v104, v24, v104 row_newbcast:0 row_mask:0xf bank_mask:0xf// 00000000CE78: 0AD0D0FA FF015018
	v_mul_f32_dpp v105, v24, v105 row_newbcast:1 row_mask:0xf bank_mask:0xf// 00000000CE80: 0AD2D2FA FF015118
	v_mul_f32_dpp v106, v24, v106 row_newbcast:2 row_mask:0xf bank_mask:0xf// 00000000CE88: 0AD4D4FA FF015218
	v_mul_f32_dpp v107, v24, v107 row_newbcast:3 row_mask:0xf bank_mask:0xf// 00000000CE90: 0AD6D6FA FF015318
	v_mul_f32_dpp v108, v24, v108 row_newbcast:0 row_mask:0xf bank_mask:0xf// 00000000CE98: 0AD8D8FA FF015018
	v_mul_f32_dpp v109, v24, v109 row_newbcast:1 row_mask:0xf bank_mask:0xf// 00000000CEA0: 0ADADAFA FF015118
	v_mul_f32_dpp v110, v24, v110 row_newbcast:2 row_mask:0xf bank_mask:0xf// 00000000CEA8: 0ADCDCFA FF015218
	v_mul_f32_dpp v111, v24, v111 row_newbcast:3 row_mask:0xf bank_mask:0xf// 00000000CEB0: 0ADEDEFA FF015318
	v_mul_f32_dpp v112, v24, v112 row_newbcast:4 row_mask:0xf bank_mask:0xf// 00000000CEB8: 0AE0E0FA FF015418
	v_mul_f32_dpp v113, v24, v113 row_newbcast:5 row_mask:0xf bank_mask:0xf// 00000000CEC0: 0AE2E2FA FF015518
	v_mul_f32_dpp v114, v24, v114 row_newbcast:6 row_mask:0xf bank_mask:0xf// 00000000CEC8: 0AE4E4FA FF015618
	v_mul_f32_dpp v115, v24, v115 row_newbcast:7 row_mask:0xf bank_mask:0xf// 00000000CED0: 0AE6E6FA FF015718
	v_mul_f32_dpp v116, v24, v116 row_newbcast:4 row_mask:0xf bank_mask:0xf// 00000000CED8: 0AE8E8FA FF015418
	v_mul_f32_dpp v117, v24, v117 row_newbcast:5 row_mask:0xf bank_mask:0xf// 00000000CEE0: 0AEAEAFA FF015518
	v_mul_f32_dpp v118, v24, v118 row_newbcast:6 row_mask:0xf bank_mask:0xf// 00000000CEE8: 0AECECFA FF015618
	v_mul_f32_dpp v119, v24, v119 row_newbcast:7 row_mask:0xf bank_mask:0xf// 00000000CEF0: 0AEEEEFA FF015718
	v_mul_f32_dpp v120, v24, v120 row_newbcast:4 row_mask:0xf bank_mask:0xf// 00000000CEF8: 0AF0F0FA FF015418
	v_mul_f32_dpp v121, v24, v121 row_newbcast:5 row_mask:0xf bank_mask:0xf// 00000000CF00: 0AF2F2FA FF015518
	v_mul_f32_dpp v122, v24, v122 row_newbcast:6 row_mask:0xf bank_mask:0xf// 00000000CF08: 0AF4F4FA FF015618
	v_mul_f32_dpp v123, v24, v123 row_newbcast:7 row_mask:0xf bank_mask:0xf// 00000000CF10: 0AF6F6FA FF015718
	v_mul_f32_dpp v124, v24, v124 row_newbcast:4 row_mask:0xf bank_mask:0xf// 00000000CF18: 0AF8F8FA FF015418
	v_mul_f32_dpp v125, v24, v125 row_newbcast:5 row_mask:0xf bank_mask:0xf// 00000000CF20: 0AFAFAFA FF015518
	v_mul_f32_dpp v126, v24, v126 row_newbcast:6 row_mask:0xf bank_mask:0xf// 00000000CF28: 0AFCFCFA FF015618
	v_mul_f32_dpp v127, v24, v127 row_newbcast:7 row_mask:0xf bank_mask:0xf// 00000000CF30: 0AFEFEFA FF015718
	v_mul_f32_dpp v128, v24, v128 row_newbcast:4 row_mask:0xf bank_mask:0xf// 00000000CF38: 0B0100FA FF015418
	v_mul_f32_dpp v129, v24, v129 row_newbcast:5 row_mask:0xf bank_mask:0xf// 00000000CF40: 0B0302FA FF015518
	v_mul_f32_dpp v130, v24, v130 row_newbcast:6 row_mask:0xf bank_mask:0xf// 00000000CF48: 0B0504FA FF015618
	v_mul_f32_dpp v131, v24, v131 row_newbcast:7 row_mask:0xf bank_mask:0xf// 00000000CF50: 0B0706FA FF015718
	v_mul_f32_dpp v132, v24, v132 row_newbcast:4 row_mask:0xf bank_mask:0xf// 00000000CF58: 0B0908FA FF015418
	v_mul_f32_dpp v133, v24, v133 row_newbcast:5 row_mask:0xf bank_mask:0xf// 00000000CF60: 0B0B0AFA FF015518
	v_mul_f32_dpp v134, v24, v134 row_newbcast:6 row_mask:0xf bank_mask:0xf// 00000000CF68: 0B0D0CFA FF015618
	v_mul_f32_dpp v135, v24, v135 row_newbcast:7 row_mask:0xf bank_mask:0xf// 00000000CF70: 0B0F0EFA FF015718
	v_mul_f32_dpp v136, v24, v136 row_newbcast:4 row_mask:0xf bank_mask:0xf// 00000000CF78: 0B1110FA FF015418
	v_mul_f32_dpp v137, v24, v137 row_newbcast:5 row_mask:0xf bank_mask:0xf// 00000000CF80: 0B1312FA FF015518
	v_mul_f32_dpp v138, v24, v138 row_newbcast:6 row_mask:0xf bank_mask:0xf// 00000000CF88: 0B1514FA FF015618
	v_mul_f32_dpp v139, v24, v139 row_newbcast:7 row_mask:0xf bank_mask:0xf// 00000000CF90: 0B1716FA FF015718
	v_mul_f32_dpp v140, v24, v140 row_newbcast:4 row_mask:0xf bank_mask:0xf// 00000000CF98: 0B1918FA FF015418
	v_mul_f32_dpp v141, v24, v141 row_newbcast:5 row_mask:0xf bank_mask:0xf// 00000000CFA0: 0B1B1AFA FF015518
	v_mul_f32_dpp v142, v24, v142 row_newbcast:6 row_mask:0xf bank_mask:0xf// 00000000CFA8: 0B1D1CFA FF015618
	v_mul_f32_dpp v143, v24, v143 row_newbcast:7 row_mask:0xf bank_mask:0xf// 00000000CFB0: 0B1F1EFA FF015718
	v_mul_f32_dpp v144, v27, v144 row_newbcast:0 row_mask:0xf bank_mask:0xf// 00000000CFB8: 0B2120FA FF01501B
	v_mul_f32_dpp v145, v27, v145 row_newbcast:1 row_mask:0xf bank_mask:0xf// 00000000CFC0: 0B2322FA FF01511B
	v_mul_f32_dpp v146, v27, v146 row_newbcast:2 row_mask:0xf bank_mask:0xf// 00000000CFC8: 0B2524FA FF01521B
	v_mul_f32_dpp v147, v27, v147 row_newbcast:3 row_mask:0xf bank_mask:0xf// 00000000CFD0: 0B2726FA FF01531B
	v_mul_f32_dpp v148, v27, v148 row_newbcast:0 row_mask:0xf bank_mask:0xf// 00000000CFD8: 0B2928FA FF01501B
	v_mul_f32_dpp v149, v27, v149 row_newbcast:1 row_mask:0xf bank_mask:0xf// 00000000CFE0: 0B2B2AFA FF01511B
	v_mul_f32_dpp v150, v27, v150 row_newbcast:2 row_mask:0xf bank_mask:0xf// 00000000CFE8: 0B2D2CFA FF01521B
	v_mul_f32_dpp v151, v27, v151 row_newbcast:3 row_mask:0xf bank_mask:0xf// 00000000CFF0: 0B2F2EFA FF01531B
	v_mul_f32_dpp v152, v27, v152 row_newbcast:0 row_mask:0xf bank_mask:0xf// 00000000CFF8: 0B3130FA FF01501B
	v_mul_f32_dpp v153, v27, v153 row_newbcast:1 row_mask:0xf bank_mask:0xf// 00000000D000: 0B3332FA FF01511B
	v_mul_f32_dpp v154, v27, v154 row_newbcast:2 row_mask:0xf bank_mask:0xf// 00000000D008: 0B3534FA FF01521B
	v_mul_f32_dpp v155, v27, v155 row_newbcast:3 row_mask:0xf bank_mask:0xf// 00000000D010: 0B3736FA FF01531B
	v_mul_f32_dpp v156, v27, v156 row_newbcast:0 row_mask:0xf bank_mask:0xf// 00000000D018: 0B3938FA FF01501B
	v_mul_f32_dpp v157, v27, v157 row_newbcast:1 row_mask:0xf bank_mask:0xf// 00000000D020: 0B3B3AFA FF01511B
	v_mul_f32_dpp v158, v27, v158 row_newbcast:2 row_mask:0xf bank_mask:0xf// 00000000D028: 0B3D3CFA FF01521B
	v_mul_f32_dpp v159, v27, v159 row_newbcast:3 row_mask:0xf bank_mask:0xf// 00000000D030: 0B3F3EFA FF01531B
	v_mul_f32_dpp v160, v27, v160 row_newbcast:0 row_mask:0xf bank_mask:0xf// 00000000D038: 0B4140FA FF01501B
	v_mul_f32_dpp v161, v27, v161 row_newbcast:1 row_mask:0xf bank_mask:0xf// 00000000D040: 0B4342FA FF01511B
	v_mul_f32_dpp v162, v27, v162 row_newbcast:2 row_mask:0xf bank_mask:0xf// 00000000D048: 0B4544FA FF01521B
	v_mul_f32_dpp v163, v27, v163 row_newbcast:3 row_mask:0xf bank_mask:0xf// 00000000D050: 0B4746FA FF01531B
	v_mul_f32_dpp v164, v27, v164 row_newbcast:0 row_mask:0xf bank_mask:0xf// 00000000D058: 0B4948FA FF01501B
	v_mul_f32_dpp v165, v27, v165 row_newbcast:1 row_mask:0xf bank_mask:0xf// 00000000D060: 0B4B4AFA FF01511B
	v_mul_f32_dpp v166, v27, v166 row_newbcast:2 row_mask:0xf bank_mask:0xf// 00000000D068: 0B4D4CFA FF01521B
	v_mul_f32_dpp v167, v27, v167 row_newbcast:3 row_mask:0xf bank_mask:0xf// 00000000D070: 0B4F4EFA FF01531B
	v_mul_f32_dpp v168, v27, v168 row_newbcast:0 row_mask:0xf bank_mask:0xf// 00000000D078: 0B5150FA FF01501B
	v_mul_f32_dpp v169, v27, v169 row_newbcast:1 row_mask:0xf bank_mask:0xf// 00000000D080: 0B5352FA FF01511B
	v_mul_f32_dpp v170, v27, v170 row_newbcast:2 row_mask:0xf bank_mask:0xf// 00000000D088: 0B5554FA FF01521B
	v_mul_f32_dpp v171, v27, v171 row_newbcast:3 row_mask:0xf bank_mask:0xf// 00000000D090: 0B5756FA FF01531B
	v_mul_f32_dpp v172, v27, v172 row_newbcast:0 row_mask:0xf bank_mask:0xf// 00000000D098: 0B5958FA FF01501B
	v_mul_f32_dpp v173, v27, v173 row_newbcast:1 row_mask:0xf bank_mask:0xf// 00000000D0A0: 0B5B5AFA FF01511B
	v_mul_f32_dpp v174, v27, v174 row_newbcast:2 row_mask:0xf bank_mask:0xf// 00000000D0A8: 0B5D5CFA FF01521B
	v_mul_f32_dpp v175, v27, v175 row_newbcast:3 row_mask:0xf bank_mask:0xf// 00000000D0B0: 0B5F5EFA FF01531B
	v_mul_f32_dpp v176, v27, v176 row_newbcast:4 row_mask:0xf bank_mask:0xf// 00000000D0B8: 0B6160FA FF01541B
	v_mul_f32_dpp v177, v27, v177 row_newbcast:5 row_mask:0xf bank_mask:0xf// 00000000D0C0: 0B6362FA FF01551B
	v_mul_f32_dpp v178, v27, v178 row_newbcast:6 row_mask:0xf bank_mask:0xf// 00000000D0C8: 0B6564FA FF01561B
	v_mul_f32_dpp v179, v27, v179 row_newbcast:7 row_mask:0xf bank_mask:0xf// 00000000D0D0: 0B6766FA FF01571B
	v_mul_f32_dpp v180, v27, v180 row_newbcast:4 row_mask:0xf bank_mask:0xf// 00000000D0D8: 0B6968FA FF01541B
	v_mul_f32_dpp v181, v27, v181 row_newbcast:5 row_mask:0xf bank_mask:0xf// 00000000D0E0: 0B6B6AFA FF01551B
	v_mul_f32_dpp v182, v27, v182 row_newbcast:6 row_mask:0xf bank_mask:0xf// 00000000D0E8: 0B6D6CFA FF01561B
	v_mul_f32_dpp v183, v27, v183 row_newbcast:7 row_mask:0xf bank_mask:0xf// 00000000D0F0: 0B6F6EFA FF01571B
	v_mul_f32_dpp v184, v27, v184 row_newbcast:4 row_mask:0xf bank_mask:0xf// 00000000D0F8: 0B7170FA FF01541B
	v_mul_f32_dpp v185, v27, v185 row_newbcast:5 row_mask:0xf bank_mask:0xf// 00000000D100: 0B7372FA FF01551B
	v_mul_f32_dpp v186, v27, v186 row_newbcast:6 row_mask:0xf bank_mask:0xf// 00000000D108: 0B7574FA FF01561B
	v_mul_f32_dpp v187, v27, v187 row_newbcast:7 row_mask:0xf bank_mask:0xf// 00000000D110: 0B7776FA FF01571B
	v_mul_f32_dpp v188, v27, v188 row_newbcast:4 row_mask:0xf bank_mask:0xf// 00000000D118: 0B7978FA FF01541B
	v_mul_f32_dpp v189, v27, v189 row_newbcast:5 row_mask:0xf bank_mask:0xf// 00000000D120: 0B7B7AFA FF01551B
	v_mul_f32_dpp v190, v27, v190 row_newbcast:6 row_mask:0xf bank_mask:0xf// 00000000D128: 0B7D7CFA FF01561B
	v_mul_f32_dpp v191, v27, v191 row_newbcast:7 row_mask:0xf bank_mask:0xf// 00000000D130: 0B7F7EFA FF01571B
	v_mul_f32_dpp v192, v27, v192 row_newbcast:4 row_mask:0xf bank_mask:0xf// 00000000D138: 0B8180FA FF01541B
	v_mul_f32_dpp v193, v27, v193 row_newbcast:5 row_mask:0xf bank_mask:0xf// 00000000D140: 0B8382FA FF01551B
	v_mul_f32_dpp v194, v27, v194 row_newbcast:6 row_mask:0xf bank_mask:0xf// 00000000D148: 0B8584FA FF01561B
	v_mul_f32_dpp v195, v27, v195 row_newbcast:7 row_mask:0xf bank_mask:0xf// 00000000D150: 0B8786FA FF01571B
	v_mul_f32_dpp v196, v27, v196 row_newbcast:4 row_mask:0xf bank_mask:0xf// 00000000D158: 0B8988FA FF01541B
	v_mul_f32_dpp v197, v27, v197 row_newbcast:5 row_mask:0xf bank_mask:0xf// 00000000D160: 0B8B8AFA FF01551B
	v_mul_f32_dpp v198, v27, v198 row_newbcast:6 row_mask:0xf bank_mask:0xf// 00000000D168: 0B8D8CFA FF01561B
	v_mul_f32_dpp v199, v27, v199 row_newbcast:7 row_mask:0xf bank_mask:0xf// 00000000D170: 0B8F8EFA FF01571B
	v_mul_f32_dpp v200, v27, v200 row_newbcast:4 row_mask:0xf bank_mask:0xf// 00000000D178: 0B9190FA FF01541B
	v_mul_f32_dpp v201, v27, v201 row_newbcast:5 row_mask:0xf bank_mask:0xf// 00000000D180: 0B9392FA FF01551B
	v_mul_f32_dpp v202, v27, v202 row_newbcast:6 row_mask:0xf bank_mask:0xf// 00000000D188: 0B9594FA FF01561B
	v_mul_f32_dpp v203, v27, v203 row_newbcast:7 row_mask:0xf bank_mask:0xf// 00000000D190: 0B9796FA FF01571B
	v_mul_f32_dpp v204, v27, v204 row_newbcast:4 row_mask:0xf bank_mask:0xf// 00000000D198: 0B9998FA FF01541B
	v_mul_f32_dpp v205, v27, v205 row_newbcast:5 row_mask:0xf bank_mask:0xf// 00000000D1A0: 0B9B9AFA FF01551B
	v_mul_f32_dpp v206, v27, v206 row_newbcast:6 row_mask:0xf bank_mask:0xf// 00000000D1A8: 0B9D9CFA FF01561B
	v_mul_f32_dpp v207, v27, v207 row_newbcast:7 row_mask:0xf bank_mask:0xf// 00000000D1B0: 0B9F9EFA FF01571B
	v_mov_b32_e32 v4, v38                                      // 00000000D1B8: 7E080326
	v_mov_b32_e32 v5, v4                                       // 00000000D1BC: 7E0A0304
	v_pk_mul_f32 v[80:81], v[4:5], v[80:81]                    // 00000000D1C0: D3B14050 1802A104
	v_pk_mul_f32 v[144:145], v[4:5], v[144:145]                // 00000000D1C8: D3B14090 18032104
	v_pk_mul_f32 v[82:83], v[4:5], v[82:83]                    // 00000000D1D0: D3B14052 1802A504
	v_pk_mul_f32 v[146:147], v[4:5], v[146:147]                // 00000000D1D8: D3B14092 18032504
	v_pk_mul_f32 v[112:113], v[4:5], v[112:113]                // 00000000D1E0: D3B14070 1802E104
	v_pk_mul_f32 v[176:177], v[4:5], v[176:177]                // 00000000D1E8: D3B140B0 18036104
	v_pk_mul_f32 v[114:115], v[4:5], v[114:115]                // 00000000D1F0: D3B14072 1802E504
	v_pk_mul_f32 v[178:179], v[4:5], v[178:179]                // 00000000D1F8: D3B140B2 18036504
	v_mov_b32_e32 v4, v39                                      // 00000000D200: 7E080327
	v_mov_b32_e32 v5, v4                                       // 00000000D204: 7E0A0304
	v_pk_mul_f32 v[84:85], v[4:5], v[84:85]                    // 00000000D208: D3B14054 1802A904
	v_pk_mul_f32 v[148:149], v[4:5], v[148:149]                // 00000000D210: D3B14094 18032904
	v_pk_mul_f32 v[86:87], v[4:5], v[86:87]                    // 00000000D218: D3B14056 1802AD04
	v_pk_mul_f32 v[150:151], v[4:5], v[150:151]                // 00000000D220: D3B14096 18032D04
	v_pk_mul_f32 v[116:117], v[4:5], v[116:117]                // 00000000D228: D3B14074 1802E904
	v_pk_mul_f32 v[180:181], v[4:5], v[180:181]                // 00000000D230: D3B140B4 18036904
	v_pk_mul_f32 v[118:119], v[4:5], v[118:119]                // 00000000D238: D3B14076 1802ED04
	v_pk_mul_f32 v[182:183], v[4:5], v[182:183]                // 00000000D240: D3B140B6 18036D04
	v_mov_b32_e32 v4, v40                                      // 00000000D248: 7E080328
	v_mov_b32_e32 v5, v4                                       // 00000000D24C: 7E0A0304
	v_pk_mul_f32 v[88:89], v[4:5], v[88:89]                    // 00000000D250: D3B14058 1802B104
	v_pk_mul_f32 v[152:153], v[4:5], v[152:153]                // 00000000D258: D3B14098 18033104
	v_pk_mul_f32 v[90:91], v[4:5], v[90:91]                    // 00000000D260: D3B1405A 1802B504
	v_pk_mul_f32 v[154:155], v[4:5], v[154:155]                // 00000000D268: D3B1409A 18033504
	v_pk_mul_f32 v[120:121], v[4:5], v[120:121]                // 00000000D270: D3B14078 1802F104
	v_pk_mul_f32 v[184:185], v[4:5], v[184:185]                // 00000000D278: D3B140B8 18037104
	v_pk_mul_f32 v[122:123], v[4:5], v[122:123]                // 00000000D280: D3B1407A 1802F504
	v_pk_mul_f32 v[186:187], v[4:5], v[186:187]                // 00000000D288: D3B140BA 18037504
	v_mov_b32_e32 v4, v41                                      // 00000000D290: 7E080329
	v_mov_b32_e32 v5, v4                                       // 00000000D294: 7E0A0304
	v_pk_mul_f32 v[92:93], v[4:5], v[92:93]                    // 00000000D298: D3B1405C 1802B904
	v_pk_mul_f32 v[156:157], v[4:5], v[156:157]                // 00000000D2A0: D3B1409C 18033904
	v_pk_mul_f32 v[94:95], v[4:5], v[94:95]                    // 00000000D2A8: D3B1405E 1802BD04
	v_pk_mul_f32 v[158:159], v[4:5], v[158:159]                // 00000000D2B0: D3B1409E 18033D04
	v_pk_mul_f32 v[124:125], v[4:5], v[124:125]                // 00000000D2B8: D3B1407C 1802F904
	v_pk_mul_f32 v[188:189], v[4:5], v[188:189]                // 00000000D2C0: D3B140BC 18037904
	v_pk_mul_f32 v[126:127], v[4:5], v[126:127]                // 00000000D2C8: D3B1407E 1802FD04
	v_pk_mul_f32 v[190:191], v[4:5], v[190:191]                // 00000000D2D0: D3B140BE 18037D04
	v_mov_b32_e32 v4, v42                                      // 00000000D2D8: 7E08032A
	v_mov_b32_e32 v5, v4                                       // 00000000D2DC: 7E0A0304
	v_pk_mul_f32 v[96:97], v[4:5], v[96:97]                    // 00000000D2E0: D3B14060 1802C104
	v_pk_mul_f32 v[160:161], v[4:5], v[160:161]                // 00000000D2E8: D3B140A0 18034104
	v_pk_mul_f32 v[98:99], v[4:5], v[98:99]                    // 00000000D2F0: D3B14062 1802C504
	v_pk_mul_f32 v[162:163], v[4:5], v[162:163]                // 00000000D2F8: D3B140A2 18034504
	v_pk_mul_f32 v[128:129], v[4:5], v[128:129]                // 00000000D300: D3B14080 18030104
	v_pk_mul_f32 v[192:193], v[4:5], v[192:193]                // 00000000D308: D3B140C0 18038104
	v_pk_mul_f32 v[130:131], v[4:5], v[130:131]                // 00000000D310: D3B14082 18030504
	v_pk_mul_f32 v[194:195], v[4:5], v[194:195]                // 00000000D318: D3B140C2 18038504
	v_mov_b32_e32 v4, v43                                      // 00000000D320: 7E08032B
	v_mov_b32_e32 v5, v4                                       // 00000000D324: 7E0A0304
	v_pk_mul_f32 v[100:101], v[4:5], v[100:101]                // 00000000D328: D3B14064 1802C904
	v_pk_mul_f32 v[164:165], v[4:5], v[164:165]                // 00000000D330: D3B140A4 18034904
	v_pk_mul_f32 v[102:103], v[4:5], v[102:103]                // 00000000D338: D3B14066 1802CD04
	v_pk_mul_f32 v[166:167], v[4:5], v[166:167]                // 00000000D340: D3B140A6 18034D04
	v_pk_mul_f32 v[132:133], v[4:5], v[132:133]                // 00000000D348: D3B14084 18030904
	v_pk_mul_f32 v[196:197], v[4:5], v[196:197]                // 00000000D350: D3B140C4 18038904
	v_pk_mul_f32 v[134:135], v[4:5], v[134:135]                // 00000000D358: D3B14086 18030D04
	v_pk_mul_f32 v[198:199], v[4:5], v[198:199]                // 00000000D360: D3B140C6 18038D04
	v_mov_b32_e32 v4, v44                                      // 00000000D368: 7E08032C
	v_mov_b32_e32 v5, v4                                       // 00000000D36C: 7E0A0304
	v_pk_mul_f32 v[104:105], v[4:5], v[104:105]                // 00000000D370: D3B14068 1802D104
	v_pk_mul_f32 v[168:169], v[4:5], v[168:169]                // 00000000D378: D3B140A8 18035104
	v_pk_mul_f32 v[106:107], v[4:5], v[106:107]                // 00000000D380: D3B1406A 1802D504
	v_pk_mul_f32 v[170:171], v[4:5], v[170:171]                // 00000000D388: D3B140AA 18035504
	v_pk_mul_f32 v[136:137], v[4:5], v[136:137]                // 00000000D390: D3B14088 18031104
	v_pk_mul_f32 v[200:201], v[4:5], v[200:201]                // 00000000D398: D3B140C8 18039104
	v_pk_mul_f32 v[138:139], v[4:5], v[138:139]                // 00000000D3A0: D3B1408A 18031504
	v_pk_mul_f32 v[202:203], v[4:5], v[202:203]                // 00000000D3A8: D3B140CA 18039504
	v_mov_b32_e32 v4, v45                                      // 00000000D3B0: 7E08032D
	v_mov_b32_e32 v5, v4                                       // 00000000D3B4: 7E0A0304
	v_pk_mul_f32 v[108:109], v[4:5], v[108:109]                // 00000000D3B8: D3B1406C 1802D904
	v_pk_mul_f32 v[172:173], v[4:5], v[172:173]                // 00000000D3C0: D3B140AC 18035904
	v_pk_mul_f32 v[110:111], v[4:5], v[110:111]                // 00000000D3C8: D3B1406E 1802DD04
	v_pk_mul_f32 v[174:175], v[4:5], v[174:175]                // 00000000D3D0: D3B140AE 18035D04
	v_pk_mul_f32 v[140:141], v[4:5], v[140:141]                // 00000000D3D8: D3B1408C 18031904
	v_pk_mul_f32 v[204:205], v[4:5], v[204:205]                // 00000000D3E0: D3B140CC 18039904
	v_pk_mul_f32 v[142:143], v[4:5], v[142:143]                // 00000000D3E8: D3B1408E 18031D04
	v_pk_mul_f32 v[206:207], v[4:5], v[206:207]                // 00000000D3F0: D3B140CE 18039D04
	s_cmp_eq_u32 s88, 0                                        // 00000000D3F8: BF068058
	s_cbranch_scc0 label_33E4                                  // 00000000D3FC: BF840961
	s_cmp_eq_u32 s89, 0                                        // 00000000D400: BF068059
	s_cbranch_scc1 label_2D0A                                  // 00000000D404: BF850285
	v_mov_b32_e32 v8, v1                                       // 00000000D408: 7E100301
	v_mov_b32_e32 v9, v1                                       // 00000000D40C: 7E120301
	s_mov_b32 s60, s6                                          // 00000000D410: BEBC0006
	s_mov_b32 s61, s6                                          // 00000000D414: BEBD0006
	v_pk_mul_f32 v[4:5], v[80:81], v[80:81]                    // 00000000D418: D3B14004 1802A150
	v_pk_mul_f32 v[6:7], v[82:83], v[82:83]                    // 00000000D420: D3B14006 1802A552
	v_pk_fma_f32 v[4:5], v[4:5], s[78:79], v[8:9]              // 00000000D428: D3B04004 1C209D04
	v_pk_fma_f32 v[6:7], v[6:7], s[78:79], v[8:9]              // 00000000D430: D3B04006 1C209D06
	v_pk_mul_f32 v[4:5], v[4:5], v[80:81]                      // 00000000D438: D3B14004 1802A104
	v_pk_mul_f32 v[6:7], v[6:7], v[82:83]                      // 00000000D440: D3B14006 1802A506
	v_pk_mul_f32 v[4:5], v[4:5], s[60:61]                      // 00000000D448: D3B14004 18007904
	v_pk_mul_f32 v[6:7], v[6:7], s[60:61]                      // 00000000D450: D3B14006 18007906
	v_exp_f32_e32 v4, v4                                       // 00000000D458: 7E084104
	v_exp_f32_e32 v5, v5                                       // 00000000D45C: 7E0A4105
	v_exp_f32_e32 v6, v6                                       // 00000000D460: 7E0C4106
	v_exp_f32_e32 v7, v7                                       // 00000000D464: 7E0E4107
	v_add_f32_e64 v4, v4, 1.0                                  // 00000000D468: D1010004 0001E504
	v_add_f32_e64 v5, v5, 1.0                                  // 00000000D470: D1010005 0001E505
	v_add_f32_e64 v6, v6, 1.0                                  // 00000000D478: D1010006 0001E506
	v_add_f32_e64 v7, v7, 1.0                                  // 00000000D480: D1010007 0001E507
	v_rcp_f32_e32 v4, v4                                       // 00000000D488: 7E084504
	v_rcp_f32_e32 v5, v5                                       // 00000000D48C: 7E0A4505
	v_rcp_f32_e32 v6, v6                                       // 00000000D490: 7E0C4506
	v_rcp_f32_e32 v7, v7                                       // 00000000D494: 7E0E4507
	v_mul_f32_e32 v80, v80, v4                                 // 00000000D498: 0AA00950
	v_mul_f32_e32 v81, v81, v5                                 // 00000000D49C: 0AA20B51
	v_mul_f32_e32 v82, v82, v6                                 // 00000000D4A0: 0AA40D52
	v_mul_f32_e32 v83, v83, v7                                 // 00000000D4A4: 0AA60F53
	v_mul_f32_e32 v80, v80, v144                               // 00000000D4A8: 0AA12150
	v_mul_f32_e32 v81, v81, v145                               // 00000000D4AC: 0AA32351
	v_mul_f32_e32 v82, v82, v146                               // 00000000D4B0: 0AA52552
	v_mul_f32_e32 v83, v83, v147                               // 00000000D4B4: 0AA72753
	v_pk_mul_f32 v[4:5], v[84:85], v[84:85]                    // 00000000D4B8: D3B14004 1802A954
	v_pk_mul_f32 v[6:7], v[86:87], v[86:87]                    // 00000000D4C0: D3B14006 1802AD56
	v_pk_fma_f32 v[4:5], v[4:5], s[78:79], v[8:9]              // 00000000D4C8: D3B04004 1C209D04
	v_pk_fma_f32 v[6:7], v[6:7], s[78:79], v[8:9]              // 00000000D4D0: D3B04006 1C209D06
	v_pk_mul_f32 v[4:5], v[4:5], v[84:85]                      // 00000000D4D8: D3B14004 1802A904
	v_pk_mul_f32 v[6:7], v[6:7], v[86:87]                      // 00000000D4E0: D3B14006 1802AD06
	v_pk_mul_f32 v[4:5], v[4:5], s[60:61]                      // 00000000D4E8: D3B14004 18007904
	v_pk_mul_f32 v[6:7], v[6:7], s[60:61]                      // 00000000D4F0: D3B14006 18007906
	v_exp_f32_e32 v4, v4                                       // 00000000D4F8: 7E084104
	v_exp_f32_e32 v5, v5                                       // 00000000D4FC: 7E0A4105
	v_exp_f32_e32 v6, v6                                       // 00000000D500: 7E0C4106
	v_exp_f32_e32 v7, v7                                       // 00000000D504: 7E0E4107
	v_add_f32_e64 v4, v4, 1.0                                  // 00000000D508: D1010004 0001E504
	v_add_f32_e64 v5, v5, 1.0                                  // 00000000D510: D1010005 0001E505
	v_add_f32_e64 v6, v6, 1.0                                  // 00000000D518: D1010006 0001E506
	v_add_f32_e64 v7, v7, 1.0                                  // 00000000D520: D1010007 0001E507
	v_rcp_f32_e32 v4, v4                                       // 00000000D528: 7E084504
	v_rcp_f32_e32 v5, v5                                       // 00000000D52C: 7E0A4505
	v_rcp_f32_e32 v6, v6                                       // 00000000D530: 7E0C4506
	v_rcp_f32_e32 v7, v7                                       // 00000000D534: 7E0E4507
	v_mul_f32_e32 v84, v84, v4                                 // 00000000D538: 0AA80954
	v_mul_f32_e32 v85, v85, v5                                 // 00000000D53C: 0AAA0B55
	v_mul_f32_e32 v86, v86, v6                                 // 00000000D540: 0AAC0D56
	v_mul_f32_e32 v87, v87, v7                                 // 00000000D544: 0AAE0F57
	v_mul_f32_e32 v84, v84, v148                               // 00000000D548: 0AA92954
	v_mul_f32_e32 v85, v85, v149                               // 00000000D54C: 0AAB2B55
	v_mul_f32_e32 v86, v86, v150                               // 00000000D550: 0AAD2D56
	v_mul_f32_e32 v87, v87, v151                               // 00000000D554: 0AAF2F57
	v_pk_mul_f32 v[4:5], v[88:89], v[88:89]                    // 00000000D558: D3B14004 1802B158
	v_pk_mul_f32 v[6:7], v[90:91], v[90:91]                    // 00000000D560: D3B14006 1802B55A
	v_pk_fma_f32 v[4:5], v[4:5], s[78:79], v[8:9]              // 00000000D568: D3B04004 1C209D04
	v_pk_fma_f32 v[6:7], v[6:7], s[78:79], v[8:9]              // 00000000D570: D3B04006 1C209D06
	v_pk_mul_f32 v[4:5], v[4:5], v[88:89]                      // 00000000D578: D3B14004 1802B104
	v_pk_mul_f32 v[6:7], v[6:7], v[90:91]                      // 00000000D580: D3B14006 1802B506
	v_pk_mul_f32 v[4:5], v[4:5], s[60:61]                      // 00000000D588: D3B14004 18007904
	v_pk_mul_f32 v[6:7], v[6:7], s[60:61]                      // 00000000D590: D3B14006 18007906
	v_exp_f32_e32 v4, v4                                       // 00000000D598: 7E084104
	v_exp_f32_e32 v5, v5                                       // 00000000D59C: 7E0A4105
	v_exp_f32_e32 v6, v6                                       // 00000000D5A0: 7E0C4106
	v_exp_f32_e32 v7, v7                                       // 00000000D5A4: 7E0E4107
	v_add_f32_e64 v4, v4, 1.0                                  // 00000000D5A8: D1010004 0001E504
	v_add_f32_e64 v5, v5, 1.0                                  // 00000000D5B0: D1010005 0001E505
	v_add_f32_e64 v6, v6, 1.0                                  // 00000000D5B8: D1010006 0001E506
	v_add_f32_e64 v7, v7, 1.0                                  // 00000000D5C0: D1010007 0001E507
	v_rcp_f32_e32 v4, v4                                       // 00000000D5C8: 7E084504
	v_rcp_f32_e32 v5, v5                                       // 00000000D5CC: 7E0A4505
	v_rcp_f32_e32 v6, v6                                       // 00000000D5D0: 7E0C4506
	v_rcp_f32_e32 v7, v7                                       // 00000000D5D4: 7E0E4507
	v_mul_f32_e32 v88, v88, v4                                 // 00000000D5D8: 0AB00958
	v_mul_f32_e32 v89, v89, v5                                 // 00000000D5DC: 0AB20B59
	v_mul_f32_e32 v90, v90, v6                                 // 00000000D5E0: 0AB40D5A
	v_mul_f32_e32 v91, v91, v7                                 // 00000000D5E4: 0AB60F5B
	v_mul_f32_e32 v88, v88, v152                               // 00000000D5E8: 0AB13158
	v_mul_f32_e32 v89, v89, v153                               // 00000000D5EC: 0AB33359
	v_mul_f32_e32 v90, v90, v154                               // 00000000D5F0: 0AB5355A
	v_mul_f32_e32 v91, v91, v155                               // 00000000D5F4: 0AB7375B
	v_pk_mul_f32 v[4:5], v[92:93], v[92:93]                    // 00000000D5F8: D3B14004 1802B95C
	v_pk_mul_f32 v[6:7], v[94:95], v[94:95]                    // 00000000D600: D3B14006 1802BD5E
	v_pk_fma_f32 v[4:5], v[4:5], s[78:79], v[8:9]              // 00000000D608: D3B04004 1C209D04
	v_pk_fma_f32 v[6:7], v[6:7], s[78:79], v[8:9]              // 00000000D610: D3B04006 1C209D06
	v_pk_mul_f32 v[4:5], v[4:5], v[92:93]                      // 00000000D618: D3B14004 1802B904
	v_pk_mul_f32 v[6:7], v[6:7], v[94:95]                      // 00000000D620: D3B14006 1802BD06
	v_pk_mul_f32 v[4:5], v[4:5], s[60:61]                      // 00000000D628: D3B14004 18007904
	v_pk_mul_f32 v[6:7], v[6:7], s[60:61]                      // 00000000D630: D3B14006 18007906
	v_exp_f32_e32 v4, v4                                       // 00000000D638: 7E084104
	v_exp_f32_e32 v5, v5                                       // 00000000D63C: 7E0A4105
	v_exp_f32_e32 v6, v6                                       // 00000000D640: 7E0C4106
	v_exp_f32_e32 v7, v7                                       // 00000000D644: 7E0E4107
	v_add_f32_e64 v4, v4, 1.0                                  // 00000000D648: D1010004 0001E504
	v_add_f32_e64 v5, v5, 1.0                                  // 00000000D650: D1010005 0001E505
	v_add_f32_e64 v6, v6, 1.0                                  // 00000000D658: D1010006 0001E506
	v_add_f32_e64 v7, v7, 1.0                                  // 00000000D660: D1010007 0001E507
	v_rcp_f32_e32 v4, v4                                       // 00000000D668: 7E084504
	v_rcp_f32_e32 v5, v5                                       // 00000000D66C: 7E0A4505
	v_rcp_f32_e32 v6, v6                                       // 00000000D670: 7E0C4506
	v_rcp_f32_e32 v7, v7                                       // 00000000D674: 7E0E4507
	v_mul_f32_e32 v92, v92, v4                                 // 00000000D678: 0AB8095C
	v_mul_f32_e32 v93, v93, v5                                 // 00000000D67C: 0ABA0B5D
	v_mul_f32_e32 v94, v94, v6                                 // 00000000D680: 0ABC0D5E
	v_mul_f32_e32 v95, v95, v7                                 // 00000000D684: 0ABE0F5F
	v_mul_f32_e32 v92, v92, v156                               // 00000000D688: 0AB9395C
	v_mul_f32_e32 v93, v93, v157                               // 00000000D68C: 0ABB3B5D
	v_mul_f32_e32 v94, v94, v158                               // 00000000D690: 0ABD3D5E
	v_mul_f32_e32 v95, v95, v159                               // 00000000D694: 0ABF3F5F
	v_pk_mul_f32 v[4:5], v[96:97], v[96:97]                    // 00000000D698: D3B14004 1802C160
	v_pk_mul_f32 v[6:7], v[98:99], v[98:99]                    // 00000000D6A0: D3B14006 1802C562
	v_pk_fma_f32 v[4:5], v[4:5], s[78:79], v[8:9]              // 00000000D6A8: D3B04004 1C209D04
	v_pk_fma_f32 v[6:7], v[6:7], s[78:79], v[8:9]              // 00000000D6B0: D3B04006 1C209D06
	v_pk_mul_f32 v[4:5], v[4:5], v[96:97]                      // 00000000D6B8: D3B14004 1802C104
	v_pk_mul_f32 v[6:7], v[6:7], v[98:99]                      // 00000000D6C0: D3B14006 1802C506
	v_pk_mul_f32 v[4:5], v[4:5], s[60:61]                      // 00000000D6C8: D3B14004 18007904
	v_pk_mul_f32 v[6:7], v[6:7], s[60:61]                      // 00000000D6D0: D3B14006 18007906
	v_exp_f32_e32 v4, v4                                       // 00000000D6D8: 7E084104
	v_exp_f32_e32 v5, v5                                       // 00000000D6DC: 7E0A4105
	v_exp_f32_e32 v6, v6                                       // 00000000D6E0: 7E0C4106
	v_exp_f32_e32 v7, v7                                       // 00000000D6E4: 7E0E4107
	v_add_f32_e64 v4, v4, 1.0                                  // 00000000D6E8: D1010004 0001E504
	v_add_f32_e64 v5, v5, 1.0                                  // 00000000D6F0: D1010005 0001E505
	v_add_f32_e64 v6, v6, 1.0                                  // 00000000D6F8: D1010006 0001E506
	v_add_f32_e64 v7, v7, 1.0                                  // 00000000D700: D1010007 0001E507
	v_rcp_f32_e32 v4, v4                                       // 00000000D708: 7E084504
	v_rcp_f32_e32 v5, v5                                       // 00000000D70C: 7E0A4505
	v_rcp_f32_e32 v6, v6                                       // 00000000D710: 7E0C4506
	v_rcp_f32_e32 v7, v7                                       // 00000000D714: 7E0E4507
	v_mul_f32_e32 v96, v96, v4                                 // 00000000D718: 0AC00960
	v_mul_f32_e32 v97, v97, v5                                 // 00000000D71C: 0AC20B61
	v_mul_f32_e32 v98, v98, v6                                 // 00000000D720: 0AC40D62
	v_mul_f32_e32 v99, v99, v7                                 // 00000000D724: 0AC60F63
	v_mul_f32_e32 v96, v96, v160                               // 00000000D728: 0AC14160
	v_mul_f32_e32 v97, v97, v161                               // 00000000D72C: 0AC34361
	v_mul_f32_e32 v98, v98, v162                               // 00000000D730: 0AC54562
	v_mul_f32_e32 v99, v99, v163                               // 00000000D734: 0AC74763
	v_pk_mul_f32 v[4:5], v[100:101], v[100:101]                // 00000000D738: D3B14004 1802C964
	v_pk_mul_f32 v[6:7], v[102:103], v[102:103]                // 00000000D740: D3B14006 1802CD66
	v_pk_fma_f32 v[4:5], v[4:5], s[78:79], v[8:9]              // 00000000D748: D3B04004 1C209D04
	v_pk_fma_f32 v[6:7], v[6:7], s[78:79], v[8:9]              // 00000000D750: D3B04006 1C209D06
	v_pk_mul_f32 v[4:5], v[4:5], v[100:101]                    // 00000000D758: D3B14004 1802C904
	v_pk_mul_f32 v[6:7], v[6:7], v[102:103]                    // 00000000D760: D3B14006 1802CD06
	v_pk_mul_f32 v[4:5], v[4:5], s[60:61]                      // 00000000D768: D3B14004 18007904
	v_pk_mul_f32 v[6:7], v[6:7], s[60:61]                      // 00000000D770: D3B14006 18007906
	v_exp_f32_e32 v4, v4                                       // 00000000D778: 7E084104
	v_exp_f32_e32 v5, v5                                       // 00000000D77C: 7E0A4105
	v_exp_f32_e32 v6, v6                                       // 00000000D780: 7E0C4106
	v_exp_f32_e32 v7, v7                                       // 00000000D784: 7E0E4107
	v_add_f32_e64 v4, v4, 1.0                                  // 00000000D788: D1010004 0001E504
	v_add_f32_e64 v5, v5, 1.0                                  // 00000000D790: D1010005 0001E505
	v_add_f32_e64 v6, v6, 1.0                                  // 00000000D798: D1010006 0001E506
	v_add_f32_e64 v7, v7, 1.0                                  // 00000000D7A0: D1010007 0001E507
	v_rcp_f32_e32 v4, v4                                       // 00000000D7A8: 7E084504
	v_rcp_f32_e32 v5, v5                                       // 00000000D7AC: 7E0A4505
	v_rcp_f32_e32 v6, v6                                       // 00000000D7B0: 7E0C4506
	v_rcp_f32_e32 v7, v7                                       // 00000000D7B4: 7E0E4507
	v_mul_f32_e32 v100, v100, v4                               // 00000000D7B8: 0AC80964
	v_mul_f32_e32 v101, v101, v5                               // 00000000D7BC: 0ACA0B65
	v_mul_f32_e32 v102, v102, v6                               // 00000000D7C0: 0ACC0D66
	v_mul_f32_e32 v103, v103, v7                               // 00000000D7C4: 0ACE0F67
	v_mul_f32_e32 v100, v100, v164                             // 00000000D7C8: 0AC94964
	v_mul_f32_e32 v101, v101, v165                             // 00000000D7CC: 0ACB4B65
	v_mul_f32_e32 v102, v102, v166                             // 00000000D7D0: 0ACD4D66
	v_mul_f32_e32 v103, v103, v167                             // 00000000D7D4: 0ACF4F67
	v_pk_mul_f32 v[4:5], v[104:105], v[104:105]                // 00000000D7D8: D3B14004 1802D168
	v_pk_mul_f32 v[6:7], v[106:107], v[106:107]                // 00000000D7E0: D3B14006 1802D56A
	v_pk_fma_f32 v[4:5], v[4:5], s[78:79], v[8:9]              // 00000000D7E8: D3B04004 1C209D04
	v_pk_fma_f32 v[6:7], v[6:7], s[78:79], v[8:9]              // 00000000D7F0: D3B04006 1C209D06
	v_pk_mul_f32 v[4:5], v[4:5], v[104:105]                    // 00000000D7F8: D3B14004 1802D104
	v_pk_mul_f32 v[6:7], v[6:7], v[106:107]                    // 00000000D800: D3B14006 1802D506
	v_pk_mul_f32 v[4:5], v[4:5], s[60:61]                      // 00000000D808: D3B14004 18007904
	v_pk_mul_f32 v[6:7], v[6:7], s[60:61]                      // 00000000D810: D3B14006 18007906
	v_exp_f32_e32 v4, v4                                       // 00000000D818: 7E084104
	v_exp_f32_e32 v5, v5                                       // 00000000D81C: 7E0A4105
	v_exp_f32_e32 v6, v6                                       // 00000000D820: 7E0C4106
	v_exp_f32_e32 v7, v7                                       // 00000000D824: 7E0E4107
	v_add_f32_e64 v4, v4, 1.0                                  // 00000000D828: D1010004 0001E504
	v_add_f32_e64 v5, v5, 1.0                                  // 00000000D830: D1010005 0001E505
	v_add_f32_e64 v6, v6, 1.0                                  // 00000000D838: D1010006 0001E506
	v_add_f32_e64 v7, v7, 1.0                                  // 00000000D840: D1010007 0001E507
	v_rcp_f32_e32 v4, v4                                       // 00000000D848: 7E084504
	v_rcp_f32_e32 v5, v5                                       // 00000000D84C: 7E0A4505
	v_rcp_f32_e32 v6, v6                                       // 00000000D850: 7E0C4506
	v_rcp_f32_e32 v7, v7                                       // 00000000D854: 7E0E4507
	v_mul_f32_e32 v104, v104, v4                               // 00000000D858: 0AD00968
	v_mul_f32_e32 v105, v105, v5                               // 00000000D85C: 0AD20B69
	v_mul_f32_e32 v106, v106, v6                               // 00000000D860: 0AD40D6A
	v_mul_f32_e32 v107, v107, v7                               // 00000000D864: 0AD60F6B
	v_mul_f32_e32 v104, v104, v168                             // 00000000D868: 0AD15168
	v_mul_f32_e32 v105, v105, v169                             // 00000000D86C: 0AD35369
	v_mul_f32_e32 v106, v106, v170                             // 00000000D870: 0AD5556A
	v_mul_f32_e32 v107, v107, v171                             // 00000000D874: 0AD7576B
	v_pk_mul_f32 v[4:5], v[108:109], v[108:109]                // 00000000D878: D3B14004 1802D96C
	v_pk_mul_f32 v[6:7], v[110:111], v[110:111]                // 00000000D880: D3B14006 1802DD6E
	v_pk_fma_f32 v[4:5], v[4:5], s[78:79], v[8:9]              // 00000000D888: D3B04004 1C209D04
	v_pk_fma_f32 v[6:7], v[6:7], s[78:79], v[8:9]              // 00000000D890: D3B04006 1C209D06
	v_pk_mul_f32 v[4:5], v[4:5], v[108:109]                    // 00000000D898: D3B14004 1802D904
	v_pk_mul_f32 v[6:7], v[6:7], v[110:111]                    // 00000000D8A0: D3B14006 1802DD06
	v_pk_mul_f32 v[4:5], v[4:5], s[60:61]                      // 00000000D8A8: D3B14004 18007904
	v_pk_mul_f32 v[6:7], v[6:7], s[60:61]                      // 00000000D8B0: D3B14006 18007906
	v_exp_f32_e32 v4, v4                                       // 00000000D8B8: 7E084104
	v_exp_f32_e32 v5, v5                                       // 00000000D8BC: 7E0A4105
	v_exp_f32_e32 v6, v6                                       // 00000000D8C0: 7E0C4106
	v_exp_f32_e32 v7, v7                                       // 00000000D8C4: 7E0E4107
	v_add_f32_e64 v4, v4, 1.0                                  // 00000000D8C8: D1010004 0001E504
	v_add_f32_e64 v5, v5, 1.0                                  // 00000000D8D0: D1010005 0001E505
	v_add_f32_e64 v6, v6, 1.0                                  // 00000000D8D8: D1010006 0001E506
	v_add_f32_e64 v7, v7, 1.0                                  // 00000000D8E0: D1010007 0001E507
	v_rcp_f32_e32 v4, v4                                       // 00000000D8E8: 7E084504
	v_rcp_f32_e32 v5, v5                                       // 00000000D8EC: 7E0A4505
	v_rcp_f32_e32 v6, v6                                       // 00000000D8F0: 7E0C4506
	v_rcp_f32_e32 v7, v7                                       // 00000000D8F4: 7E0E4507
	v_mul_f32_e32 v108, v108, v4                               // 00000000D8F8: 0AD8096C
	v_mul_f32_e32 v109, v109, v5                               // 00000000D8FC: 0ADA0B6D
	v_mul_f32_e32 v110, v110, v6                               // 00000000D900: 0ADC0D6E
	v_mul_f32_e32 v111, v111, v7                               // 00000000D904: 0ADE0F6F
	v_mul_f32_e32 v108, v108, v172                             // 00000000D908: 0AD9596C
	v_mul_f32_e32 v109, v109, v173                             // 00000000D90C: 0ADB5B6D
	v_mul_f32_e32 v110, v110, v174                             // 00000000D910: 0ADD5D6E
	v_mul_f32_e32 v111, v111, v175                             // 00000000D914: 0ADF5F6F
	v_pk_mul_f32 v[4:5], v[112:113], v[112:113]                // 00000000D918: D3B14004 1802E170
	v_pk_mul_f32 v[6:7], v[114:115], v[114:115]                // 00000000D920: D3B14006 1802E572
	v_pk_fma_f32 v[4:5], v[4:5], s[78:79], v[8:9]              // 00000000D928: D3B04004 1C209D04
	v_pk_fma_f32 v[6:7], v[6:7], s[78:79], v[8:9]              // 00000000D930: D3B04006 1C209D06
	v_pk_mul_f32 v[4:5], v[4:5], v[112:113]                    // 00000000D938: D3B14004 1802E104
	v_pk_mul_f32 v[6:7], v[6:7], v[114:115]                    // 00000000D940: D3B14006 1802E506
	v_pk_mul_f32 v[4:5], v[4:5], s[60:61]                      // 00000000D948: D3B14004 18007904
	v_pk_mul_f32 v[6:7], v[6:7], s[60:61]                      // 00000000D950: D3B14006 18007906
	v_exp_f32_e32 v4, v4                                       // 00000000D958: 7E084104
	v_exp_f32_e32 v5, v5                                       // 00000000D95C: 7E0A4105
	v_exp_f32_e32 v6, v6                                       // 00000000D960: 7E0C4106
	v_exp_f32_e32 v7, v7                                       // 00000000D964: 7E0E4107
	v_add_f32_e64 v4, v4, 1.0                                  // 00000000D968: D1010004 0001E504
	v_add_f32_e64 v5, v5, 1.0                                  // 00000000D970: D1010005 0001E505
	v_add_f32_e64 v6, v6, 1.0                                  // 00000000D978: D1010006 0001E506
	v_add_f32_e64 v7, v7, 1.0                                  // 00000000D980: D1010007 0001E507
	v_rcp_f32_e32 v4, v4                                       // 00000000D988: 7E084504
	v_rcp_f32_e32 v5, v5                                       // 00000000D98C: 7E0A4505
	v_rcp_f32_e32 v6, v6                                       // 00000000D990: 7E0C4506
	v_rcp_f32_e32 v7, v7                                       // 00000000D994: 7E0E4507
	v_mul_f32_e32 v112, v112, v4                               // 00000000D998: 0AE00970
	v_mul_f32_e32 v113, v113, v5                               // 00000000D99C: 0AE20B71
	v_mul_f32_e32 v114, v114, v6                               // 00000000D9A0: 0AE40D72
	v_mul_f32_e32 v115, v115, v7                               // 00000000D9A4: 0AE60F73
	v_mul_f32_e32 v112, v112, v176                             // 00000000D9A8: 0AE16170
	v_mul_f32_e32 v113, v113, v177                             // 00000000D9AC: 0AE36371
	v_mul_f32_e32 v114, v114, v178                             // 00000000D9B0: 0AE56572
	v_mul_f32_e32 v115, v115, v179                             // 00000000D9B4: 0AE76773
	v_pk_mul_f32 v[4:5], v[116:117], v[116:117]                // 00000000D9B8: D3B14004 1802E974
	v_pk_mul_f32 v[6:7], v[118:119], v[118:119]                // 00000000D9C0: D3B14006 1802ED76
	v_pk_fma_f32 v[4:5], v[4:5], s[78:79], v[8:9]              // 00000000D9C8: D3B04004 1C209D04
	v_pk_fma_f32 v[6:7], v[6:7], s[78:79], v[8:9]              // 00000000D9D0: D3B04006 1C209D06
	v_pk_mul_f32 v[4:5], v[4:5], v[116:117]                    // 00000000D9D8: D3B14004 1802E904
	v_pk_mul_f32 v[6:7], v[6:7], v[118:119]                    // 00000000D9E0: D3B14006 1802ED06
	v_pk_mul_f32 v[4:5], v[4:5], s[60:61]                      // 00000000D9E8: D3B14004 18007904
	v_pk_mul_f32 v[6:7], v[6:7], s[60:61]                      // 00000000D9F0: D3B14006 18007906
	v_exp_f32_e32 v4, v4                                       // 00000000D9F8: 7E084104
	v_exp_f32_e32 v5, v5                                       // 00000000D9FC: 7E0A4105
	v_exp_f32_e32 v6, v6                                       // 00000000DA00: 7E0C4106
	v_exp_f32_e32 v7, v7                                       // 00000000DA04: 7E0E4107
	v_add_f32_e64 v4, v4, 1.0                                  // 00000000DA08: D1010004 0001E504
	v_add_f32_e64 v5, v5, 1.0                                  // 00000000DA10: D1010005 0001E505
	v_add_f32_e64 v6, v6, 1.0                                  // 00000000DA18: D1010006 0001E506
	v_add_f32_e64 v7, v7, 1.0                                  // 00000000DA20: D1010007 0001E507
	v_rcp_f32_e32 v4, v4                                       // 00000000DA28: 7E084504
	v_rcp_f32_e32 v5, v5                                       // 00000000DA2C: 7E0A4505
	v_rcp_f32_e32 v6, v6                                       // 00000000DA30: 7E0C4506
	v_rcp_f32_e32 v7, v7                                       // 00000000DA34: 7E0E4507
	v_mul_f32_e32 v116, v116, v4                               // 00000000DA38: 0AE80974
	v_mul_f32_e32 v117, v117, v5                               // 00000000DA3C: 0AEA0B75
	v_mul_f32_e32 v118, v118, v6                               // 00000000DA40: 0AEC0D76
	v_mul_f32_e32 v119, v119, v7                               // 00000000DA44: 0AEE0F77
	v_mul_f32_e32 v116, v116, v180                             // 00000000DA48: 0AE96974
	v_mul_f32_e32 v117, v117, v181                             // 00000000DA4C: 0AEB6B75
	v_mul_f32_e32 v118, v118, v182                             // 00000000DA50: 0AED6D76
	v_mul_f32_e32 v119, v119, v183                             // 00000000DA54: 0AEF6F77
	v_pk_mul_f32 v[4:5], v[120:121], v[120:121]                // 00000000DA58: D3B14004 1802F178
	v_pk_mul_f32 v[6:7], v[122:123], v[122:123]                // 00000000DA60: D3B14006 1802F57A
	v_pk_fma_f32 v[4:5], v[4:5], s[78:79], v[8:9]              // 00000000DA68: D3B04004 1C209D04
	v_pk_fma_f32 v[6:7], v[6:7], s[78:79], v[8:9]              // 00000000DA70: D3B04006 1C209D06
	v_pk_mul_f32 v[4:5], v[4:5], v[120:121]                    // 00000000DA78: D3B14004 1802F104
	v_pk_mul_f32 v[6:7], v[6:7], v[122:123]                    // 00000000DA80: D3B14006 1802F506
	v_pk_mul_f32 v[4:5], v[4:5], s[60:61]                      // 00000000DA88: D3B14004 18007904
	v_pk_mul_f32 v[6:7], v[6:7], s[60:61]                      // 00000000DA90: D3B14006 18007906
	v_exp_f32_e32 v4, v4                                       // 00000000DA98: 7E084104
	v_exp_f32_e32 v5, v5                                       // 00000000DA9C: 7E0A4105
	v_exp_f32_e32 v6, v6                                       // 00000000DAA0: 7E0C4106
	v_exp_f32_e32 v7, v7                                       // 00000000DAA4: 7E0E4107
	v_add_f32_e64 v4, v4, 1.0                                  // 00000000DAA8: D1010004 0001E504
	v_add_f32_e64 v5, v5, 1.0                                  // 00000000DAB0: D1010005 0001E505
	v_add_f32_e64 v6, v6, 1.0                                  // 00000000DAB8: D1010006 0001E506
	v_add_f32_e64 v7, v7, 1.0                                  // 00000000DAC0: D1010007 0001E507
	v_rcp_f32_e32 v4, v4                                       // 00000000DAC8: 7E084504
	v_rcp_f32_e32 v5, v5                                       // 00000000DACC: 7E0A4505
	v_rcp_f32_e32 v6, v6                                       // 00000000DAD0: 7E0C4506
	v_rcp_f32_e32 v7, v7                                       // 00000000DAD4: 7E0E4507
	v_mul_f32_e32 v120, v120, v4                               // 00000000DAD8: 0AF00978
	v_mul_f32_e32 v121, v121, v5                               // 00000000DADC: 0AF20B79
	v_mul_f32_e32 v122, v122, v6                               // 00000000DAE0: 0AF40D7A
	v_mul_f32_e32 v123, v123, v7                               // 00000000DAE4: 0AF60F7B
	v_mul_f32_e32 v120, v120, v184                             // 00000000DAE8: 0AF17178
	v_mul_f32_e32 v121, v121, v185                             // 00000000DAEC: 0AF37379
	v_mul_f32_e32 v122, v122, v186                             // 00000000DAF0: 0AF5757A
	v_mul_f32_e32 v123, v123, v187                             // 00000000DAF4: 0AF7777B
	v_pk_mul_f32 v[4:5], v[124:125], v[124:125]                // 00000000DAF8: D3B14004 1802F97C
	v_pk_mul_f32 v[6:7], v[126:127], v[126:127]                // 00000000DB00: D3B14006 1802FD7E
	v_pk_fma_f32 v[4:5], v[4:5], s[78:79], v[8:9]              // 00000000DB08: D3B04004 1C209D04
	v_pk_fma_f32 v[6:7], v[6:7], s[78:79], v[8:9]              // 00000000DB10: D3B04006 1C209D06
	v_pk_mul_f32 v[4:5], v[4:5], v[124:125]                    // 00000000DB18: D3B14004 1802F904
	v_pk_mul_f32 v[6:7], v[6:7], v[126:127]                    // 00000000DB20: D3B14006 1802FD06
	v_pk_mul_f32 v[4:5], v[4:5], s[60:61]                      // 00000000DB28: D3B14004 18007904
	v_pk_mul_f32 v[6:7], v[6:7], s[60:61]                      // 00000000DB30: D3B14006 18007906
	v_exp_f32_e32 v4, v4                                       // 00000000DB38: 7E084104
	v_exp_f32_e32 v5, v5                                       // 00000000DB3C: 7E0A4105
	v_exp_f32_e32 v6, v6                                       // 00000000DB40: 7E0C4106
	v_exp_f32_e32 v7, v7                                       // 00000000DB44: 7E0E4107
	v_add_f32_e64 v4, v4, 1.0                                  // 00000000DB48: D1010004 0001E504
	v_add_f32_e64 v5, v5, 1.0                                  // 00000000DB50: D1010005 0001E505
	v_add_f32_e64 v6, v6, 1.0                                  // 00000000DB58: D1010006 0001E506
	v_add_f32_e64 v7, v7, 1.0                                  // 00000000DB60: D1010007 0001E507
	v_rcp_f32_e32 v4, v4                                       // 00000000DB68: 7E084504
	v_rcp_f32_e32 v5, v5                                       // 00000000DB6C: 7E0A4505
	v_rcp_f32_e32 v6, v6                                       // 00000000DB70: 7E0C4506
	v_rcp_f32_e32 v7, v7                                       // 00000000DB74: 7E0E4507
	v_mul_f32_e32 v124, v124, v4                               // 00000000DB78: 0AF8097C
	v_mul_f32_e32 v125, v125, v5                               // 00000000DB7C: 0AFA0B7D
	v_mul_f32_e32 v126, v126, v6                               // 00000000DB80: 0AFC0D7E
	v_mul_f32_e32 v127, v127, v7                               // 00000000DB84: 0AFE0F7F
	v_mul_f32_e32 v124, v124, v188                             // 00000000DB88: 0AF9797C
	v_mul_f32_e32 v125, v125, v189                             // 00000000DB8C: 0AFB7B7D
	v_mul_f32_e32 v126, v126, v190                             // 00000000DB90: 0AFD7D7E
	v_mul_f32_e32 v127, v127, v191                             // 00000000DB94: 0AFF7F7F
	v_pk_mul_f32 v[4:5], v[128:129], v[128:129]                // 00000000DB98: D3B14004 18030180
	v_pk_mul_f32 v[6:7], v[130:131], v[130:131]                // 00000000DBA0: D3B14006 18030582
	v_pk_fma_f32 v[4:5], v[4:5], s[78:79], v[8:9]              // 00000000DBA8: D3B04004 1C209D04
	v_pk_fma_f32 v[6:7], v[6:7], s[78:79], v[8:9]              // 00000000DBB0: D3B04006 1C209D06
	v_pk_mul_f32 v[4:5], v[4:5], v[128:129]                    // 00000000DBB8: D3B14004 18030104
	v_pk_mul_f32 v[6:7], v[6:7], v[130:131]                    // 00000000DBC0: D3B14006 18030506
	v_pk_mul_f32 v[4:5], v[4:5], s[60:61]                      // 00000000DBC8: D3B14004 18007904
	v_pk_mul_f32 v[6:7], v[6:7], s[60:61]                      // 00000000DBD0: D3B14006 18007906
	v_exp_f32_e32 v4, v4                                       // 00000000DBD8: 7E084104
	v_exp_f32_e32 v5, v5                                       // 00000000DBDC: 7E0A4105
	v_exp_f32_e32 v6, v6                                       // 00000000DBE0: 7E0C4106
	v_exp_f32_e32 v7, v7                                       // 00000000DBE4: 7E0E4107
	v_add_f32_e64 v4, v4, 1.0                                  // 00000000DBE8: D1010004 0001E504
	v_add_f32_e64 v5, v5, 1.0                                  // 00000000DBF0: D1010005 0001E505
	v_add_f32_e64 v6, v6, 1.0                                  // 00000000DBF8: D1010006 0001E506
	v_add_f32_e64 v7, v7, 1.0                                  // 00000000DC00: D1010007 0001E507
	v_rcp_f32_e32 v4, v4                                       // 00000000DC08: 7E084504
	v_rcp_f32_e32 v5, v5                                       // 00000000DC0C: 7E0A4505
	v_rcp_f32_e32 v6, v6                                       // 00000000DC10: 7E0C4506
	v_rcp_f32_e32 v7, v7                                       // 00000000DC14: 7E0E4507
	v_mul_f32_e32 v128, v128, v4                               // 00000000DC18: 0B000980
	v_mul_f32_e32 v129, v129, v5                               // 00000000DC1C: 0B020B81
	v_mul_f32_e32 v130, v130, v6                               // 00000000DC20: 0B040D82
	v_mul_f32_e32 v131, v131, v7                               // 00000000DC24: 0B060F83
	v_mul_f32_e32 v128, v128, v192                             // 00000000DC28: 0B018180
	v_mul_f32_e32 v129, v129, v193                             // 00000000DC2C: 0B038381
	v_mul_f32_e32 v130, v130, v194                             // 00000000DC30: 0B058582
	v_mul_f32_e32 v131, v131, v195                             // 00000000DC34: 0B078783
	v_pk_mul_f32 v[4:5], v[132:133], v[132:133]                // 00000000DC38: D3B14004 18030984
	v_pk_mul_f32 v[6:7], v[134:135], v[134:135]                // 00000000DC40: D3B14006 18030D86
	v_pk_fma_f32 v[4:5], v[4:5], s[78:79], v[8:9]              // 00000000DC48: D3B04004 1C209D04
	v_pk_fma_f32 v[6:7], v[6:7], s[78:79], v[8:9]              // 00000000DC50: D3B04006 1C209D06
	v_pk_mul_f32 v[4:5], v[4:5], v[132:133]                    // 00000000DC58: D3B14004 18030904
	v_pk_mul_f32 v[6:7], v[6:7], v[134:135]                    // 00000000DC60: D3B14006 18030D06
	v_pk_mul_f32 v[4:5], v[4:5], s[60:61]                      // 00000000DC68: D3B14004 18007904
	v_pk_mul_f32 v[6:7], v[6:7], s[60:61]                      // 00000000DC70: D3B14006 18007906
	v_exp_f32_e32 v4, v4                                       // 00000000DC78: 7E084104
	v_exp_f32_e32 v5, v5                                       // 00000000DC7C: 7E0A4105
	v_exp_f32_e32 v6, v6                                       // 00000000DC80: 7E0C4106
	v_exp_f32_e32 v7, v7                                       // 00000000DC84: 7E0E4107
	v_add_f32_e64 v4, v4, 1.0                                  // 00000000DC88: D1010004 0001E504
	v_add_f32_e64 v5, v5, 1.0                                  // 00000000DC90: D1010005 0001E505
	v_add_f32_e64 v6, v6, 1.0                                  // 00000000DC98: D1010006 0001E506
	v_add_f32_e64 v7, v7, 1.0                                  // 00000000DCA0: D1010007 0001E507
	v_rcp_f32_e32 v4, v4                                       // 00000000DCA8: 7E084504
	v_rcp_f32_e32 v5, v5                                       // 00000000DCAC: 7E0A4505
	v_rcp_f32_e32 v6, v6                                       // 00000000DCB0: 7E0C4506
	v_rcp_f32_e32 v7, v7                                       // 00000000DCB4: 7E0E4507
	v_mul_f32_e32 v132, v132, v4                               // 00000000DCB8: 0B080984
	v_mul_f32_e32 v133, v133, v5                               // 00000000DCBC: 0B0A0B85
	v_mul_f32_e32 v134, v134, v6                               // 00000000DCC0: 0B0C0D86
	v_mul_f32_e32 v135, v135, v7                               // 00000000DCC4: 0B0E0F87
	v_mul_f32_e32 v132, v132, v196                             // 00000000DCC8: 0B098984
	v_mul_f32_e32 v133, v133, v197                             // 00000000DCCC: 0B0B8B85
	v_mul_f32_e32 v134, v134, v198                             // 00000000DCD0: 0B0D8D86
	v_mul_f32_e32 v135, v135, v199                             // 00000000DCD4: 0B0F8F87
	v_pk_mul_f32 v[4:5], v[136:137], v[136:137]                // 00000000DCD8: D3B14004 18031188
	v_pk_mul_f32 v[6:7], v[138:139], v[138:139]                // 00000000DCE0: D3B14006 1803158A
	v_pk_fma_f32 v[4:5], v[4:5], s[78:79], v[8:9]              // 00000000DCE8: D3B04004 1C209D04
	v_pk_fma_f32 v[6:7], v[6:7], s[78:79], v[8:9]              // 00000000DCF0: D3B04006 1C209D06
	v_pk_mul_f32 v[4:5], v[4:5], v[136:137]                    // 00000000DCF8: D3B14004 18031104
	v_pk_mul_f32 v[6:7], v[6:7], v[138:139]                    // 00000000DD00: D3B14006 18031506
	v_pk_mul_f32 v[4:5], v[4:5], s[60:61]                      // 00000000DD08: D3B14004 18007904
	v_pk_mul_f32 v[6:7], v[6:7], s[60:61]                      // 00000000DD10: D3B14006 18007906
	v_exp_f32_e32 v4, v4                                       // 00000000DD18: 7E084104
	v_exp_f32_e32 v5, v5                                       // 00000000DD1C: 7E0A4105
	v_exp_f32_e32 v6, v6                                       // 00000000DD20: 7E0C4106
	v_exp_f32_e32 v7, v7                                       // 00000000DD24: 7E0E4107
	v_add_f32_e64 v4, v4, 1.0                                  // 00000000DD28: D1010004 0001E504
	v_add_f32_e64 v5, v5, 1.0                                  // 00000000DD30: D1010005 0001E505
	v_add_f32_e64 v6, v6, 1.0                                  // 00000000DD38: D1010006 0001E506
	v_add_f32_e64 v7, v7, 1.0                                  // 00000000DD40: D1010007 0001E507
	v_rcp_f32_e32 v4, v4                                       // 00000000DD48: 7E084504
	v_rcp_f32_e32 v5, v5                                       // 00000000DD4C: 7E0A4505
	v_rcp_f32_e32 v6, v6                                       // 00000000DD50: 7E0C4506
	v_rcp_f32_e32 v7, v7                                       // 00000000DD54: 7E0E4507
	v_mul_f32_e32 v136, v136, v4                               // 00000000DD58: 0B100988
	v_mul_f32_e32 v137, v137, v5                               // 00000000DD5C: 0B120B89
	v_mul_f32_e32 v138, v138, v6                               // 00000000DD60: 0B140D8A
	v_mul_f32_e32 v139, v139, v7                               // 00000000DD64: 0B160F8B
	v_mul_f32_e32 v136, v136, v200                             // 00000000DD68: 0B119188
	v_mul_f32_e32 v137, v137, v201                             // 00000000DD6C: 0B139389
	v_mul_f32_e32 v138, v138, v202                             // 00000000DD70: 0B15958A
	v_mul_f32_e32 v139, v139, v203                             // 00000000DD74: 0B17978B
	v_pk_mul_f32 v[4:5], v[140:141], v[140:141]                // 00000000DD78: D3B14004 1803198C
	v_pk_mul_f32 v[6:7], v[142:143], v[142:143]                // 00000000DD80: D3B14006 18031D8E
	v_pk_fma_f32 v[4:5], v[4:5], s[78:79], v[8:9]              // 00000000DD88: D3B04004 1C209D04
	v_pk_fma_f32 v[6:7], v[6:7], s[78:79], v[8:9]              // 00000000DD90: D3B04006 1C209D06
	v_pk_mul_f32 v[4:5], v[4:5], v[140:141]                    // 00000000DD98: D3B14004 18031904
	v_pk_mul_f32 v[6:7], v[6:7], v[142:143]                    // 00000000DDA0: D3B14006 18031D06
	v_pk_mul_f32 v[4:5], v[4:5], s[60:61]                      // 00000000DDA8: D3B14004 18007904
	v_pk_mul_f32 v[6:7], v[6:7], s[60:61]                      // 00000000DDB0: D3B14006 18007906
	v_exp_f32_e32 v4, v4                                       // 00000000DDB8: 7E084104
	v_exp_f32_e32 v5, v5                                       // 00000000DDBC: 7E0A4105
	v_exp_f32_e32 v6, v6                                       // 00000000DDC0: 7E0C4106
	v_exp_f32_e32 v7, v7                                       // 00000000DDC4: 7E0E4107
	v_add_f32_e64 v4, v4, 1.0                                  // 00000000DDC8: D1010004 0001E504
	v_add_f32_e64 v5, v5, 1.0                                  // 00000000DDD0: D1010005 0001E505
	v_add_f32_e64 v6, v6, 1.0                                  // 00000000DDD8: D1010006 0001E506
	v_add_f32_e64 v7, v7, 1.0                                  // 00000000DDE0: D1010007 0001E507
	v_rcp_f32_e32 v4, v4                                       // 00000000DDE8: 7E084504
	v_rcp_f32_e32 v5, v5                                       // 00000000DDEC: 7E0A4505
	v_rcp_f32_e32 v6, v6                                       // 00000000DDF0: 7E0C4506
	v_rcp_f32_e32 v7, v7                                       // 00000000DDF4: 7E0E4507
	v_mul_f32_e32 v140, v140, v4                               // 00000000DDF8: 0B18098C
	v_mul_f32_e32 v141, v141, v5                               // 00000000DDFC: 0B1A0B8D
	v_mul_f32_e32 v142, v142, v6                               // 00000000DE00: 0B1C0D8E
	v_mul_f32_e32 v143, v143, v7                               // 00000000DE04: 0B1E0F8F
	v_mul_f32_e32 v140, v140, v204                             // 00000000DE08: 0B19998C
	v_mul_f32_e32 v141, v141, v205                             // 00000000DE0C: 0B1B9B8D
	v_mul_f32_e32 v142, v142, v206                             // 00000000DE10: 0B1D9D8E
	v_mul_f32_e32 v143, v143, v207                             // 00000000DE14: 0B1F9F8F
	s_branch label_2F0A                                        // 00000000DE18: BF820200

000000000000de1c <label_2D0A>:
	v_mul_f32_e64 v4, -v80, s6                                 // 00000000DE1C: D1050004 20000D50
	v_mul_f32_e64 v5, -v81, s6                                 // 00000000DE24: D1050005 20000D51
	v_mul_f32_e64 v6, -v82, s6                                 // 00000000DE2C: D1050006 20000D52
	v_mul_f32_e64 v7, -v83, s6                                 // 00000000DE34: D1050007 20000D53
	v_exp_f32_e32 v4, v4                                       // 00000000DE3C: 7E084104
	v_exp_f32_e32 v5, v5                                       // 00000000DE40: 7E0A4105
	v_exp_f32_e32 v6, v6                                       // 00000000DE44: 7E0C4106
	v_exp_f32_e32 v7, v7                                       // 00000000DE48: 7E0E4107
	v_add_f32_e64 v4, v4, 1.0                                  // 00000000DE4C: D1010004 0001E504
	v_add_f32_e64 v5, v5, 1.0                                  // 00000000DE54: D1010005 0001E505
	v_add_f32_e64 v6, v6, 1.0                                  // 00000000DE5C: D1010006 0001E506
	v_add_f32_e64 v7, v7, 1.0                                  // 00000000DE64: D1010007 0001E507
	v_rcp_f32_e32 v4, v4                                       // 00000000DE6C: 7E084504
	v_rcp_f32_e32 v5, v5                                       // 00000000DE70: 7E0A4505
	v_rcp_f32_e32 v6, v6                                       // 00000000DE74: 7E0C4506
	v_rcp_f32_e32 v7, v7                                       // 00000000DE78: 7E0E4507
	v_mul_f32_e32 v80, v80, v4                                 // 00000000DE7C: 0AA00950
	v_mul_f32_e32 v81, v81, v5                                 // 00000000DE80: 0AA20B51
	v_mul_f32_e32 v82, v82, v6                                 // 00000000DE84: 0AA40D52
	v_mul_f32_e32 v83, v83, v7                                 // 00000000DE88: 0AA60F53
	v_mul_f32_e32 v80, v80, v144                               // 00000000DE8C: 0AA12150
	v_mul_f32_e32 v81, v81, v145                               // 00000000DE90: 0AA32351
	v_mul_f32_e32 v82, v82, v146                               // 00000000DE94: 0AA52552
	v_mul_f32_e32 v83, v83, v147                               // 00000000DE98: 0AA72753
	v_mul_f32_e64 v4, -v84, s6                                 // 00000000DE9C: D1050004 20000D54
	v_mul_f32_e64 v5, -v85, s6                                 // 00000000DEA4: D1050005 20000D55
	v_mul_f32_e64 v6, -v86, s6                                 // 00000000DEAC: D1050006 20000D56
	v_mul_f32_e64 v7, -v87, s6                                 // 00000000DEB4: D1050007 20000D57
	v_exp_f32_e32 v4, v4                                       // 00000000DEBC: 7E084104
	v_exp_f32_e32 v5, v5                                       // 00000000DEC0: 7E0A4105
	v_exp_f32_e32 v6, v6                                       // 00000000DEC4: 7E0C4106
	v_exp_f32_e32 v7, v7                                       // 00000000DEC8: 7E0E4107
	v_add_f32_e64 v4, v4, 1.0                                  // 00000000DECC: D1010004 0001E504
	v_add_f32_e64 v5, v5, 1.0                                  // 00000000DED4: D1010005 0001E505
	v_add_f32_e64 v6, v6, 1.0                                  // 00000000DEDC: D1010006 0001E506
	v_add_f32_e64 v7, v7, 1.0                                  // 00000000DEE4: D1010007 0001E507
	v_rcp_f32_e32 v4, v4                                       // 00000000DEEC: 7E084504
	v_rcp_f32_e32 v5, v5                                       // 00000000DEF0: 7E0A4505
	v_rcp_f32_e32 v6, v6                                       // 00000000DEF4: 7E0C4506
	v_rcp_f32_e32 v7, v7                                       // 00000000DEF8: 7E0E4507
	v_mul_f32_e32 v84, v84, v4                                 // 00000000DEFC: 0AA80954
	v_mul_f32_e32 v85, v85, v5                                 // 00000000DF00: 0AAA0B55
	v_mul_f32_e32 v86, v86, v6                                 // 00000000DF04: 0AAC0D56
	v_mul_f32_e32 v87, v87, v7                                 // 00000000DF08: 0AAE0F57
	v_mul_f32_e32 v84, v84, v148                               // 00000000DF0C: 0AA92954
	v_mul_f32_e32 v85, v85, v149                               // 00000000DF10: 0AAB2B55
	v_mul_f32_e32 v86, v86, v150                               // 00000000DF14: 0AAD2D56
	v_mul_f32_e32 v87, v87, v151                               // 00000000DF18: 0AAF2F57
	v_mul_f32_e64 v4, -v88, s6                                 // 00000000DF1C: D1050004 20000D58
	v_mul_f32_e64 v5, -v89, s6                                 // 00000000DF24: D1050005 20000D59
	v_mul_f32_e64 v6, -v90, s6                                 // 00000000DF2C: D1050006 20000D5A
	v_mul_f32_e64 v7, -v91, s6                                 // 00000000DF34: D1050007 20000D5B
	v_exp_f32_e32 v4, v4                                       // 00000000DF3C: 7E084104
	v_exp_f32_e32 v5, v5                                       // 00000000DF40: 7E0A4105
	v_exp_f32_e32 v6, v6                                       // 00000000DF44: 7E0C4106
	v_exp_f32_e32 v7, v7                                       // 00000000DF48: 7E0E4107
	v_add_f32_e64 v4, v4, 1.0                                  // 00000000DF4C: D1010004 0001E504
	v_add_f32_e64 v5, v5, 1.0                                  // 00000000DF54: D1010005 0001E505
	v_add_f32_e64 v6, v6, 1.0                                  // 00000000DF5C: D1010006 0001E506
	v_add_f32_e64 v7, v7, 1.0                                  // 00000000DF64: D1010007 0001E507
	v_rcp_f32_e32 v4, v4                                       // 00000000DF6C: 7E084504
	v_rcp_f32_e32 v5, v5                                       // 00000000DF70: 7E0A4505
	v_rcp_f32_e32 v6, v6                                       // 00000000DF74: 7E0C4506
	v_rcp_f32_e32 v7, v7                                       // 00000000DF78: 7E0E4507
	v_mul_f32_e32 v88, v88, v4                                 // 00000000DF7C: 0AB00958
	v_mul_f32_e32 v89, v89, v5                                 // 00000000DF80: 0AB20B59
	v_mul_f32_e32 v90, v90, v6                                 // 00000000DF84: 0AB40D5A
	v_mul_f32_e32 v91, v91, v7                                 // 00000000DF88: 0AB60F5B
	v_mul_f32_e32 v88, v88, v152                               // 00000000DF8C: 0AB13158
	v_mul_f32_e32 v89, v89, v153                               // 00000000DF90: 0AB33359
	v_mul_f32_e32 v90, v90, v154                               // 00000000DF94: 0AB5355A
	v_mul_f32_e32 v91, v91, v155                               // 00000000DF98: 0AB7375B
	v_mul_f32_e64 v4, -v92, s6                                 // 00000000DF9C: D1050004 20000D5C
	v_mul_f32_e64 v5, -v93, s6                                 // 00000000DFA4: D1050005 20000D5D
	v_mul_f32_e64 v6, -v94, s6                                 // 00000000DFAC: D1050006 20000D5E
	v_mul_f32_e64 v7, -v95, s6                                 // 00000000DFB4: D1050007 20000D5F
	v_exp_f32_e32 v4, v4                                       // 00000000DFBC: 7E084104
	v_exp_f32_e32 v5, v5                                       // 00000000DFC0: 7E0A4105
	v_exp_f32_e32 v6, v6                                       // 00000000DFC4: 7E0C4106
	v_exp_f32_e32 v7, v7                                       // 00000000DFC8: 7E0E4107
	v_add_f32_e64 v4, v4, 1.0                                  // 00000000DFCC: D1010004 0001E504
	v_add_f32_e64 v5, v5, 1.0                                  // 00000000DFD4: D1010005 0001E505
	v_add_f32_e64 v6, v6, 1.0                                  // 00000000DFDC: D1010006 0001E506
	v_add_f32_e64 v7, v7, 1.0                                  // 00000000DFE4: D1010007 0001E507
	v_rcp_f32_e32 v4, v4                                       // 00000000DFEC: 7E084504
	v_rcp_f32_e32 v5, v5                                       // 00000000DFF0: 7E0A4505
	v_rcp_f32_e32 v6, v6                                       // 00000000DFF4: 7E0C4506
	v_rcp_f32_e32 v7, v7                                       // 00000000DFF8: 7E0E4507
	v_mul_f32_e32 v92, v92, v4                                 // 00000000DFFC: 0AB8095C
	v_mul_f32_e32 v93, v93, v5                                 // 00000000E000: 0ABA0B5D
	v_mul_f32_e32 v94, v94, v6                                 // 00000000E004: 0ABC0D5E
	v_mul_f32_e32 v95, v95, v7                                 // 00000000E008: 0ABE0F5F
	v_mul_f32_e32 v92, v92, v156                               // 00000000E00C: 0AB9395C
	v_mul_f32_e32 v93, v93, v157                               // 00000000E010: 0ABB3B5D
	v_mul_f32_e32 v94, v94, v158                               // 00000000E014: 0ABD3D5E
	v_mul_f32_e32 v95, v95, v159                               // 00000000E018: 0ABF3F5F
	v_mul_f32_e64 v4, -v96, s6                                 // 00000000E01C: D1050004 20000D60
	v_mul_f32_e64 v5, -v97, s6                                 // 00000000E024: D1050005 20000D61
	v_mul_f32_e64 v6, -v98, s6                                 // 00000000E02C: D1050006 20000D62
	v_mul_f32_e64 v7, -v99, s6                                 // 00000000E034: D1050007 20000D63
	v_exp_f32_e32 v4, v4                                       // 00000000E03C: 7E084104
	v_exp_f32_e32 v5, v5                                       // 00000000E040: 7E0A4105
	v_exp_f32_e32 v6, v6                                       // 00000000E044: 7E0C4106
	v_exp_f32_e32 v7, v7                                       // 00000000E048: 7E0E4107
	v_add_f32_e64 v4, v4, 1.0                                  // 00000000E04C: D1010004 0001E504
	v_add_f32_e64 v5, v5, 1.0                                  // 00000000E054: D1010005 0001E505
	v_add_f32_e64 v6, v6, 1.0                                  // 00000000E05C: D1010006 0001E506
	v_add_f32_e64 v7, v7, 1.0                                  // 00000000E064: D1010007 0001E507
	v_rcp_f32_e32 v4, v4                                       // 00000000E06C: 7E084504
	v_rcp_f32_e32 v5, v5                                       // 00000000E070: 7E0A4505
	v_rcp_f32_e32 v6, v6                                       // 00000000E074: 7E0C4506
	v_rcp_f32_e32 v7, v7                                       // 00000000E078: 7E0E4507
	v_mul_f32_e32 v96, v96, v4                                 // 00000000E07C: 0AC00960
	v_mul_f32_e32 v97, v97, v5                                 // 00000000E080: 0AC20B61
	v_mul_f32_e32 v98, v98, v6                                 // 00000000E084: 0AC40D62
	v_mul_f32_e32 v99, v99, v7                                 // 00000000E088: 0AC60F63
	v_mul_f32_e32 v96, v96, v160                               // 00000000E08C: 0AC14160
	v_mul_f32_e32 v97, v97, v161                               // 00000000E090: 0AC34361
	v_mul_f32_e32 v98, v98, v162                               // 00000000E094: 0AC54562
	v_mul_f32_e32 v99, v99, v163                               // 00000000E098: 0AC74763
	v_mul_f32_e64 v4, -v100, s6                                // 00000000E09C: D1050004 20000D64
	v_mul_f32_e64 v5, -v101, s6                                // 00000000E0A4: D1050005 20000D65
	v_mul_f32_e64 v6, -v102, s6                                // 00000000E0AC: D1050006 20000D66
	v_mul_f32_e64 v7, -v103, s6                                // 00000000E0B4: D1050007 20000D67
	v_exp_f32_e32 v4, v4                                       // 00000000E0BC: 7E084104
	v_exp_f32_e32 v5, v5                                       // 00000000E0C0: 7E0A4105
	v_exp_f32_e32 v6, v6                                       // 00000000E0C4: 7E0C4106
	v_exp_f32_e32 v7, v7                                       // 00000000E0C8: 7E0E4107
	v_add_f32_e64 v4, v4, 1.0                                  // 00000000E0CC: D1010004 0001E504
	v_add_f32_e64 v5, v5, 1.0                                  // 00000000E0D4: D1010005 0001E505
	v_add_f32_e64 v6, v6, 1.0                                  // 00000000E0DC: D1010006 0001E506
	v_add_f32_e64 v7, v7, 1.0                                  // 00000000E0E4: D1010007 0001E507
	v_rcp_f32_e32 v4, v4                                       // 00000000E0EC: 7E084504
	v_rcp_f32_e32 v5, v5                                       // 00000000E0F0: 7E0A4505
	v_rcp_f32_e32 v6, v6                                       // 00000000E0F4: 7E0C4506
	v_rcp_f32_e32 v7, v7                                       // 00000000E0F8: 7E0E4507
	v_mul_f32_e32 v100, v100, v4                               // 00000000E0FC: 0AC80964
	v_mul_f32_e32 v101, v101, v5                               // 00000000E100: 0ACA0B65
	v_mul_f32_e32 v102, v102, v6                               // 00000000E104: 0ACC0D66
	v_mul_f32_e32 v103, v103, v7                               // 00000000E108: 0ACE0F67
	v_mul_f32_e32 v100, v100, v164                             // 00000000E10C: 0AC94964
	v_mul_f32_e32 v101, v101, v165                             // 00000000E110: 0ACB4B65
	v_mul_f32_e32 v102, v102, v166                             // 00000000E114: 0ACD4D66
	v_mul_f32_e32 v103, v103, v167                             // 00000000E118: 0ACF4F67
	v_mul_f32_e64 v4, -v104, s6                                // 00000000E11C: D1050004 20000D68
	v_mul_f32_e64 v5, -v105, s6                                // 00000000E124: D1050005 20000D69
	v_mul_f32_e64 v6, -v106, s6                                // 00000000E12C: D1050006 20000D6A
	v_mul_f32_e64 v7, -v107, s6                                // 00000000E134: D1050007 20000D6B
	v_exp_f32_e32 v4, v4                                       // 00000000E13C: 7E084104
	v_exp_f32_e32 v5, v5                                       // 00000000E140: 7E0A4105
	v_exp_f32_e32 v6, v6                                       // 00000000E144: 7E0C4106
	v_exp_f32_e32 v7, v7                                       // 00000000E148: 7E0E4107
	v_add_f32_e64 v4, v4, 1.0                                  // 00000000E14C: D1010004 0001E504
	v_add_f32_e64 v5, v5, 1.0                                  // 00000000E154: D1010005 0001E505
	v_add_f32_e64 v6, v6, 1.0                                  // 00000000E15C: D1010006 0001E506
	v_add_f32_e64 v7, v7, 1.0                                  // 00000000E164: D1010007 0001E507
	v_rcp_f32_e32 v4, v4                                       // 00000000E16C: 7E084504
	v_rcp_f32_e32 v5, v5                                       // 00000000E170: 7E0A4505
	v_rcp_f32_e32 v6, v6                                       // 00000000E174: 7E0C4506
	v_rcp_f32_e32 v7, v7                                       // 00000000E178: 7E0E4507
	v_mul_f32_e32 v104, v104, v4                               // 00000000E17C: 0AD00968
	v_mul_f32_e32 v105, v105, v5                               // 00000000E180: 0AD20B69
	v_mul_f32_e32 v106, v106, v6                               // 00000000E184: 0AD40D6A
	v_mul_f32_e32 v107, v107, v7                               // 00000000E188: 0AD60F6B
	v_mul_f32_e32 v104, v104, v168                             // 00000000E18C: 0AD15168
	v_mul_f32_e32 v105, v105, v169                             // 00000000E190: 0AD35369
	v_mul_f32_e32 v106, v106, v170                             // 00000000E194: 0AD5556A
	v_mul_f32_e32 v107, v107, v171                             // 00000000E198: 0AD7576B
	v_mul_f32_e64 v4, -v108, s6                                // 00000000E19C: D1050004 20000D6C
	v_mul_f32_e64 v5, -v109, s6                                // 00000000E1A4: D1050005 20000D6D
	v_mul_f32_e64 v6, -v110, s6                                // 00000000E1AC: D1050006 20000D6E
	v_mul_f32_e64 v7, -v111, s6                                // 00000000E1B4: D1050007 20000D6F
	v_exp_f32_e32 v4, v4                                       // 00000000E1BC: 7E084104
	v_exp_f32_e32 v5, v5                                       // 00000000E1C0: 7E0A4105
	v_exp_f32_e32 v6, v6                                       // 00000000E1C4: 7E0C4106
	v_exp_f32_e32 v7, v7                                       // 00000000E1C8: 7E0E4107
	v_add_f32_e64 v4, v4, 1.0                                  // 00000000E1CC: D1010004 0001E504
	v_add_f32_e64 v5, v5, 1.0                                  // 00000000E1D4: D1010005 0001E505
	v_add_f32_e64 v6, v6, 1.0                                  // 00000000E1DC: D1010006 0001E506
	v_add_f32_e64 v7, v7, 1.0                                  // 00000000E1E4: D1010007 0001E507
	v_rcp_f32_e32 v4, v4                                       // 00000000E1EC: 7E084504
	v_rcp_f32_e32 v5, v5                                       // 00000000E1F0: 7E0A4505
	v_rcp_f32_e32 v6, v6                                       // 00000000E1F4: 7E0C4506
	v_rcp_f32_e32 v7, v7                                       // 00000000E1F8: 7E0E4507
	v_mul_f32_e32 v108, v108, v4                               // 00000000E1FC: 0AD8096C
	v_mul_f32_e32 v109, v109, v5                               // 00000000E200: 0ADA0B6D
	v_mul_f32_e32 v110, v110, v6                               // 00000000E204: 0ADC0D6E
	v_mul_f32_e32 v111, v111, v7                               // 00000000E208: 0ADE0F6F
	v_mul_f32_e32 v108, v108, v172                             // 00000000E20C: 0AD9596C
	v_mul_f32_e32 v109, v109, v173                             // 00000000E210: 0ADB5B6D
	v_mul_f32_e32 v110, v110, v174                             // 00000000E214: 0ADD5D6E
	v_mul_f32_e32 v111, v111, v175                             // 00000000E218: 0ADF5F6F
	v_mul_f32_e64 v4, -v112, s6                                // 00000000E21C: D1050004 20000D70
	v_mul_f32_e64 v5, -v113, s6                                // 00000000E224: D1050005 20000D71
	v_mul_f32_e64 v6, -v114, s6                                // 00000000E22C: D1050006 20000D72
	v_mul_f32_e64 v7, -v115, s6                                // 00000000E234: D1050007 20000D73
	v_exp_f32_e32 v4, v4                                       // 00000000E23C: 7E084104
	v_exp_f32_e32 v5, v5                                       // 00000000E240: 7E0A4105
	v_exp_f32_e32 v6, v6                                       // 00000000E244: 7E0C4106
	v_exp_f32_e32 v7, v7                                       // 00000000E248: 7E0E4107
	v_add_f32_e64 v4, v4, 1.0                                  // 00000000E24C: D1010004 0001E504
	v_add_f32_e64 v5, v5, 1.0                                  // 00000000E254: D1010005 0001E505
	v_add_f32_e64 v6, v6, 1.0                                  // 00000000E25C: D1010006 0001E506
	v_add_f32_e64 v7, v7, 1.0                                  // 00000000E264: D1010007 0001E507
	v_rcp_f32_e32 v4, v4                                       // 00000000E26C: 7E084504
	v_rcp_f32_e32 v5, v5                                       // 00000000E270: 7E0A4505
	v_rcp_f32_e32 v6, v6                                       // 00000000E274: 7E0C4506
	v_rcp_f32_e32 v7, v7                                       // 00000000E278: 7E0E4507
	v_mul_f32_e32 v112, v112, v4                               // 00000000E27C: 0AE00970
	v_mul_f32_e32 v113, v113, v5                               // 00000000E280: 0AE20B71
	v_mul_f32_e32 v114, v114, v6                               // 00000000E284: 0AE40D72
	v_mul_f32_e32 v115, v115, v7                               // 00000000E288: 0AE60F73
	v_mul_f32_e32 v112, v112, v176                             // 00000000E28C: 0AE16170
	v_mul_f32_e32 v113, v113, v177                             // 00000000E290: 0AE36371
	v_mul_f32_e32 v114, v114, v178                             // 00000000E294: 0AE56572
	v_mul_f32_e32 v115, v115, v179                             // 00000000E298: 0AE76773
	v_mul_f32_e64 v4, -v116, s6                                // 00000000E29C: D1050004 20000D74
	v_mul_f32_e64 v5, -v117, s6                                // 00000000E2A4: D1050005 20000D75
	v_mul_f32_e64 v6, -v118, s6                                // 00000000E2AC: D1050006 20000D76
	v_mul_f32_e64 v7, -v119, s6                                // 00000000E2B4: D1050007 20000D77
	v_exp_f32_e32 v4, v4                                       // 00000000E2BC: 7E084104
	v_exp_f32_e32 v5, v5                                       // 00000000E2C0: 7E0A4105
	v_exp_f32_e32 v6, v6                                       // 00000000E2C4: 7E0C4106
	v_exp_f32_e32 v7, v7                                       // 00000000E2C8: 7E0E4107
	v_add_f32_e64 v4, v4, 1.0                                  // 00000000E2CC: D1010004 0001E504
	v_add_f32_e64 v5, v5, 1.0                                  // 00000000E2D4: D1010005 0001E505
	v_add_f32_e64 v6, v6, 1.0                                  // 00000000E2DC: D1010006 0001E506
	v_add_f32_e64 v7, v7, 1.0                                  // 00000000E2E4: D1010007 0001E507
	v_rcp_f32_e32 v4, v4                                       // 00000000E2EC: 7E084504
	v_rcp_f32_e32 v5, v5                                       // 00000000E2F0: 7E0A4505
	v_rcp_f32_e32 v6, v6                                       // 00000000E2F4: 7E0C4506
	v_rcp_f32_e32 v7, v7                                       // 00000000E2F8: 7E0E4507
	v_mul_f32_e32 v116, v116, v4                               // 00000000E2FC: 0AE80974
	v_mul_f32_e32 v117, v117, v5                               // 00000000E300: 0AEA0B75
	v_mul_f32_e32 v118, v118, v6                               // 00000000E304: 0AEC0D76
	v_mul_f32_e32 v119, v119, v7                               // 00000000E308: 0AEE0F77
	v_mul_f32_e32 v116, v116, v180                             // 00000000E30C: 0AE96974
	v_mul_f32_e32 v117, v117, v181                             // 00000000E310: 0AEB6B75
	v_mul_f32_e32 v118, v118, v182                             // 00000000E314: 0AED6D76
	v_mul_f32_e32 v119, v119, v183                             // 00000000E318: 0AEF6F77
	v_mul_f32_e64 v4, -v120, s6                                // 00000000E31C: D1050004 20000D78
	v_mul_f32_e64 v5, -v121, s6                                // 00000000E324: D1050005 20000D79
	v_mul_f32_e64 v6, -v122, s6                                // 00000000E32C: D1050006 20000D7A
	v_mul_f32_e64 v7, -v123, s6                                // 00000000E334: D1050007 20000D7B
	v_exp_f32_e32 v4, v4                                       // 00000000E33C: 7E084104
	v_exp_f32_e32 v5, v5                                       // 00000000E340: 7E0A4105
	v_exp_f32_e32 v6, v6                                       // 00000000E344: 7E0C4106
	v_exp_f32_e32 v7, v7                                       // 00000000E348: 7E0E4107
	v_add_f32_e64 v4, v4, 1.0                                  // 00000000E34C: D1010004 0001E504
	v_add_f32_e64 v5, v5, 1.0                                  // 00000000E354: D1010005 0001E505
	v_add_f32_e64 v6, v6, 1.0                                  // 00000000E35C: D1010006 0001E506
	v_add_f32_e64 v7, v7, 1.0                                  // 00000000E364: D1010007 0001E507
	v_rcp_f32_e32 v4, v4                                       // 00000000E36C: 7E084504
	v_rcp_f32_e32 v5, v5                                       // 00000000E370: 7E0A4505
	v_rcp_f32_e32 v6, v6                                       // 00000000E374: 7E0C4506
	v_rcp_f32_e32 v7, v7                                       // 00000000E378: 7E0E4507
	v_mul_f32_e32 v120, v120, v4                               // 00000000E37C: 0AF00978
	v_mul_f32_e32 v121, v121, v5                               // 00000000E380: 0AF20B79
	v_mul_f32_e32 v122, v122, v6                               // 00000000E384: 0AF40D7A
	v_mul_f32_e32 v123, v123, v7                               // 00000000E388: 0AF60F7B
	v_mul_f32_e32 v120, v120, v184                             // 00000000E38C: 0AF17178
	v_mul_f32_e32 v121, v121, v185                             // 00000000E390: 0AF37379
	v_mul_f32_e32 v122, v122, v186                             // 00000000E394: 0AF5757A
	v_mul_f32_e32 v123, v123, v187                             // 00000000E398: 0AF7777B
	v_mul_f32_e64 v4, -v124, s6                                // 00000000E39C: D1050004 20000D7C
	v_mul_f32_e64 v5, -v125, s6                                // 00000000E3A4: D1050005 20000D7D
	v_mul_f32_e64 v6, -v126, s6                                // 00000000E3AC: D1050006 20000D7E
	v_mul_f32_e64 v7, -v127, s6                                // 00000000E3B4: D1050007 20000D7F
	v_exp_f32_e32 v4, v4                                       // 00000000E3BC: 7E084104
	v_exp_f32_e32 v5, v5                                       // 00000000E3C0: 7E0A4105
	v_exp_f32_e32 v6, v6                                       // 00000000E3C4: 7E0C4106
	v_exp_f32_e32 v7, v7                                       // 00000000E3C8: 7E0E4107
	v_add_f32_e64 v4, v4, 1.0                                  // 00000000E3CC: D1010004 0001E504
	v_add_f32_e64 v5, v5, 1.0                                  // 00000000E3D4: D1010005 0001E505
	v_add_f32_e64 v6, v6, 1.0                                  // 00000000E3DC: D1010006 0001E506
	v_add_f32_e64 v7, v7, 1.0                                  // 00000000E3E4: D1010007 0001E507
	v_rcp_f32_e32 v4, v4                                       // 00000000E3EC: 7E084504
	v_rcp_f32_e32 v5, v5                                       // 00000000E3F0: 7E0A4505
	v_rcp_f32_e32 v6, v6                                       // 00000000E3F4: 7E0C4506
	v_rcp_f32_e32 v7, v7                                       // 00000000E3F8: 7E0E4507
	v_mul_f32_e32 v124, v124, v4                               // 00000000E3FC: 0AF8097C
	v_mul_f32_e32 v125, v125, v5                               // 00000000E400: 0AFA0B7D
	v_mul_f32_e32 v126, v126, v6                               // 00000000E404: 0AFC0D7E
	v_mul_f32_e32 v127, v127, v7                               // 00000000E408: 0AFE0F7F
	v_mul_f32_e32 v124, v124, v188                             // 00000000E40C: 0AF9797C
	v_mul_f32_e32 v125, v125, v189                             // 00000000E410: 0AFB7B7D
	v_mul_f32_e32 v126, v126, v190                             // 00000000E414: 0AFD7D7E
	v_mul_f32_e32 v127, v127, v191                             // 00000000E418: 0AFF7F7F
	v_mul_f32_e64 v4, -v128, s6                                // 00000000E41C: D1050004 20000D80
	v_mul_f32_e64 v5, -v129, s6                                // 00000000E424: D1050005 20000D81
	v_mul_f32_e64 v6, -v130, s6                                // 00000000E42C: D1050006 20000D82
	v_mul_f32_e64 v7, -v131, s6                                // 00000000E434: D1050007 20000D83
	v_exp_f32_e32 v4, v4                                       // 00000000E43C: 7E084104
	v_exp_f32_e32 v5, v5                                       // 00000000E440: 7E0A4105
	v_exp_f32_e32 v6, v6                                       // 00000000E444: 7E0C4106
	v_exp_f32_e32 v7, v7                                       // 00000000E448: 7E0E4107
	v_add_f32_e64 v4, v4, 1.0                                  // 00000000E44C: D1010004 0001E504
	v_add_f32_e64 v5, v5, 1.0                                  // 00000000E454: D1010005 0001E505
	v_add_f32_e64 v6, v6, 1.0                                  // 00000000E45C: D1010006 0001E506
	v_add_f32_e64 v7, v7, 1.0                                  // 00000000E464: D1010007 0001E507
	v_rcp_f32_e32 v4, v4                                       // 00000000E46C: 7E084504
	v_rcp_f32_e32 v5, v5                                       // 00000000E470: 7E0A4505
	v_rcp_f32_e32 v6, v6                                       // 00000000E474: 7E0C4506
	v_rcp_f32_e32 v7, v7                                       // 00000000E478: 7E0E4507
	v_mul_f32_e32 v128, v128, v4                               // 00000000E47C: 0B000980
	v_mul_f32_e32 v129, v129, v5                               // 00000000E480: 0B020B81
	v_mul_f32_e32 v130, v130, v6                               // 00000000E484: 0B040D82
	v_mul_f32_e32 v131, v131, v7                               // 00000000E488: 0B060F83
	v_mul_f32_e32 v128, v128, v192                             // 00000000E48C: 0B018180
	v_mul_f32_e32 v129, v129, v193                             // 00000000E490: 0B038381
	v_mul_f32_e32 v130, v130, v194                             // 00000000E494: 0B058582
	v_mul_f32_e32 v131, v131, v195                             // 00000000E498: 0B078783
	v_mul_f32_e64 v4, -v132, s6                                // 00000000E49C: D1050004 20000D84
	v_mul_f32_e64 v5, -v133, s6                                // 00000000E4A4: D1050005 20000D85
	v_mul_f32_e64 v6, -v134, s6                                // 00000000E4AC: D1050006 20000D86
	v_mul_f32_e64 v7, -v135, s6                                // 00000000E4B4: D1050007 20000D87
	v_exp_f32_e32 v4, v4                                       // 00000000E4BC: 7E084104
	v_exp_f32_e32 v5, v5                                       // 00000000E4C0: 7E0A4105
	v_exp_f32_e32 v6, v6                                       // 00000000E4C4: 7E0C4106
	v_exp_f32_e32 v7, v7                                       // 00000000E4C8: 7E0E4107
	v_add_f32_e64 v4, v4, 1.0                                  // 00000000E4CC: D1010004 0001E504
	v_add_f32_e64 v5, v5, 1.0                                  // 00000000E4D4: D1010005 0001E505
	v_add_f32_e64 v6, v6, 1.0                                  // 00000000E4DC: D1010006 0001E506
	v_add_f32_e64 v7, v7, 1.0                                  // 00000000E4E4: D1010007 0001E507
	v_rcp_f32_e32 v4, v4                                       // 00000000E4EC: 7E084504
	v_rcp_f32_e32 v5, v5                                       // 00000000E4F0: 7E0A4505
	v_rcp_f32_e32 v6, v6                                       // 00000000E4F4: 7E0C4506
	v_rcp_f32_e32 v7, v7                                       // 00000000E4F8: 7E0E4507
	v_mul_f32_e32 v132, v132, v4                               // 00000000E4FC: 0B080984
	v_mul_f32_e32 v133, v133, v5                               // 00000000E500: 0B0A0B85
	v_mul_f32_e32 v134, v134, v6                               // 00000000E504: 0B0C0D86
	v_mul_f32_e32 v135, v135, v7                               // 00000000E508: 0B0E0F87
	v_mul_f32_e32 v132, v132, v196                             // 00000000E50C: 0B098984
	v_mul_f32_e32 v133, v133, v197                             // 00000000E510: 0B0B8B85
	v_mul_f32_e32 v134, v134, v198                             // 00000000E514: 0B0D8D86
	v_mul_f32_e32 v135, v135, v199                             // 00000000E518: 0B0F8F87
	v_mul_f32_e64 v4, -v136, s6                                // 00000000E51C: D1050004 20000D88
	v_mul_f32_e64 v5, -v137, s6                                // 00000000E524: D1050005 20000D89
	v_mul_f32_e64 v6, -v138, s6                                // 00000000E52C: D1050006 20000D8A
	v_mul_f32_e64 v7, -v139, s6                                // 00000000E534: D1050007 20000D8B
	v_exp_f32_e32 v4, v4                                       // 00000000E53C: 7E084104
	v_exp_f32_e32 v5, v5                                       // 00000000E540: 7E0A4105
	v_exp_f32_e32 v6, v6                                       // 00000000E544: 7E0C4106
	v_exp_f32_e32 v7, v7                                       // 00000000E548: 7E0E4107
	v_add_f32_e64 v4, v4, 1.0                                  // 00000000E54C: D1010004 0001E504
	v_add_f32_e64 v5, v5, 1.0                                  // 00000000E554: D1010005 0001E505
	v_add_f32_e64 v6, v6, 1.0                                  // 00000000E55C: D1010006 0001E506
	v_add_f32_e64 v7, v7, 1.0                                  // 00000000E564: D1010007 0001E507
	v_rcp_f32_e32 v4, v4                                       // 00000000E56C: 7E084504
	v_rcp_f32_e32 v5, v5                                       // 00000000E570: 7E0A4505
	v_rcp_f32_e32 v6, v6                                       // 00000000E574: 7E0C4506
	v_rcp_f32_e32 v7, v7                                       // 00000000E578: 7E0E4507
	v_mul_f32_e32 v136, v136, v4                               // 00000000E57C: 0B100988
	v_mul_f32_e32 v137, v137, v5                               // 00000000E580: 0B120B89
	v_mul_f32_e32 v138, v138, v6                               // 00000000E584: 0B140D8A
	v_mul_f32_e32 v139, v139, v7                               // 00000000E588: 0B160F8B
	v_mul_f32_e32 v136, v136, v200                             // 00000000E58C: 0B119188
	v_mul_f32_e32 v137, v137, v201                             // 00000000E590: 0B139389
	v_mul_f32_e32 v138, v138, v202                             // 00000000E594: 0B15958A
	v_mul_f32_e32 v139, v139, v203                             // 00000000E598: 0B17978B
	v_mul_f32_e64 v4, -v140, s6                                // 00000000E59C: D1050004 20000D8C
	v_mul_f32_e64 v5, -v141, s6                                // 00000000E5A4: D1050005 20000D8D
	v_mul_f32_e64 v6, -v142, s6                                // 00000000E5AC: D1050006 20000D8E
	v_mul_f32_e64 v7, -v143, s6                                // 00000000E5B4: D1050007 20000D8F
	v_exp_f32_e32 v4, v4                                       // 00000000E5BC: 7E084104
	v_exp_f32_e32 v5, v5                                       // 00000000E5C0: 7E0A4105
	v_exp_f32_e32 v6, v6                                       // 00000000E5C4: 7E0C4106
	v_exp_f32_e32 v7, v7                                       // 00000000E5C8: 7E0E4107
	v_add_f32_e64 v4, v4, 1.0                                  // 00000000E5CC: D1010004 0001E504
	v_add_f32_e64 v5, v5, 1.0                                  // 00000000E5D4: D1010005 0001E505
	v_add_f32_e64 v6, v6, 1.0                                  // 00000000E5DC: D1010006 0001E506
	v_add_f32_e64 v7, v7, 1.0                                  // 00000000E5E4: D1010007 0001E507
	v_rcp_f32_e32 v4, v4                                       // 00000000E5EC: 7E084504
	v_rcp_f32_e32 v5, v5                                       // 00000000E5F0: 7E0A4505
	v_rcp_f32_e32 v6, v6                                       // 00000000E5F4: 7E0C4506
	v_rcp_f32_e32 v7, v7                                       // 00000000E5F8: 7E0E4507
	v_mul_f32_e32 v140, v140, v4                               // 00000000E5FC: 0B18098C
	v_mul_f32_e32 v141, v141, v5                               // 00000000E600: 0B1A0B8D
	v_mul_f32_e32 v142, v142, v6                               // 00000000E604: 0B1C0D8E
	v_mul_f32_e32 v143, v143, v7                               // 00000000E608: 0B1E0F8F
	v_mul_f32_e32 v140, v140, v204                             // 00000000E60C: 0B19998C
	v_mul_f32_e32 v141, v141, v205                             // 00000000E610: 0B1B9B8D
	v_mul_f32_e32 v142, v142, v206                             // 00000000E614: 0B1D9D8E
	v_mul_f32_e32 v143, v143, v207                             // 00000000E618: 0B1F9F8F

000000000000e61c <label_2F0A>:
	v_cmp_u_f32_e64 s[46:47], v80, v80                         // 00000000E61C: D048002E 0002A150
	v_add3_u32 v16, v80, v19, 1                                // 00000000E624: D1FF0010 02062750
	v_cndmask_b32_e64 v4, v16, v18, s[46:47]                   // 00000000E62C: D1000004 00BA2510
	v_cmp_u_f32_e64 s[46:47], v81, v81                         // 00000000E634: D048002E 0002A351
	v_add3_u32 v16, v81, v19, 1                                // 00000000E63C: D1FF0010 02062751
	v_cndmask_b32_e64 v5, v16, v18, s[46:47]                   // 00000000E644: D1000005 00BA2510
	v_perm_b32 v80, v5, v4, s52                                // 00000000E64C: D1ED0050 00D20905
	v_cmp_u_f32_e64 s[46:47], v82, v82                         // 00000000E654: D048002E 0002A552
	v_add3_u32 v16, v82, v19, 1                                // 00000000E65C: D1FF0010 02062752
	v_cndmask_b32_e64 v4, v16, v18, s[46:47]                   // 00000000E664: D1000004 00BA2510
	v_cmp_u_f32_e64 s[46:47], v83, v83                         // 00000000E66C: D048002E 0002A753
	v_add3_u32 v16, v83, v19, 1                                // 00000000E674: D1FF0010 02062753
	v_cndmask_b32_e64 v5, v16, v18, s[46:47]                   // 00000000E67C: D1000005 00BA2510
	v_perm_b32 v81, v5, v4, s52                                // 00000000E684: D1ED0051 00D20905
	v_cmp_u_f32_e64 s[46:47], v84, v84                         // 00000000E68C: D048002E 0002A954
	v_add3_u32 v16, v84, v19, 1                                // 00000000E694: D1FF0010 02062754
	v_cndmask_b32_e64 v4, v16, v18, s[46:47]                   // 00000000E69C: D1000004 00BA2510
	v_cmp_u_f32_e64 s[46:47], v85, v85                         // 00000000E6A4: D048002E 0002AB55
	v_add3_u32 v16, v85, v19, 1                                // 00000000E6AC: D1FF0010 02062755
	v_cndmask_b32_e64 v5, v16, v18, s[46:47]                   // 00000000E6B4: D1000005 00BA2510
	v_perm_b32 v82, v5, v4, s52                                // 00000000E6BC: D1ED0052 00D20905
	v_cmp_u_f32_e64 s[46:47], v86, v86                         // 00000000E6C4: D048002E 0002AD56
	v_add3_u32 v16, v86, v19, 1                                // 00000000E6CC: D1FF0010 02062756
	v_cndmask_b32_e64 v4, v16, v18, s[46:47]                   // 00000000E6D4: D1000004 00BA2510
	v_cmp_u_f32_e64 s[46:47], v87, v87                         // 00000000E6DC: D048002E 0002AF57
	v_add3_u32 v16, v87, v19, 1                                // 00000000E6E4: D1FF0010 02062757
	v_cndmask_b32_e64 v5, v16, v18, s[46:47]                   // 00000000E6EC: D1000005 00BA2510
	v_perm_b32 v83, v5, v4, s52                                // 00000000E6F4: D1ED0053 00D20905
	v_cmp_u_f32_e64 s[46:47], v88, v88                         // 00000000E6FC: D048002E 0002B158
	v_add3_u32 v16, v88, v19, 1                                // 00000000E704: D1FF0010 02062758
	v_cndmask_b32_e64 v4, v16, v18, s[46:47]                   // 00000000E70C: D1000004 00BA2510
	v_cmp_u_f32_e64 s[46:47], v89, v89                         // 00000000E714: D048002E 0002B359
	v_add3_u32 v16, v89, v19, 1                                // 00000000E71C: D1FF0010 02062759
	v_cndmask_b32_e64 v5, v16, v18, s[46:47]                   // 00000000E724: D1000005 00BA2510
	v_perm_b32 v84, v5, v4, s52                                // 00000000E72C: D1ED0054 00D20905
	v_cmp_u_f32_e64 s[46:47], v90, v90                         // 00000000E734: D048002E 0002B55A
	v_add3_u32 v16, v90, v19, 1                                // 00000000E73C: D1FF0010 0206275A
	v_cndmask_b32_e64 v4, v16, v18, s[46:47]                   // 00000000E744: D1000004 00BA2510
	v_cmp_u_f32_e64 s[46:47], v91, v91                         // 00000000E74C: D048002E 0002B75B
	v_add3_u32 v16, v91, v19, 1                                // 00000000E754: D1FF0010 0206275B
	v_cndmask_b32_e64 v5, v16, v18, s[46:47]                   // 00000000E75C: D1000005 00BA2510
	v_perm_b32 v85, v5, v4, s52                                // 00000000E764: D1ED0055 00D20905
	v_cmp_u_f32_e64 s[46:47], v92, v92                         // 00000000E76C: D048002E 0002B95C
	v_add3_u32 v16, v92, v19, 1                                // 00000000E774: D1FF0010 0206275C
	v_cndmask_b32_e64 v4, v16, v18, s[46:47]                   // 00000000E77C: D1000004 00BA2510
	v_cmp_u_f32_e64 s[46:47], v93, v93                         // 00000000E784: D048002E 0002BB5D
	v_add3_u32 v16, v93, v19, 1                                // 00000000E78C: D1FF0010 0206275D
	v_cndmask_b32_e64 v5, v16, v18, s[46:47]                   // 00000000E794: D1000005 00BA2510
	v_perm_b32 v86, v5, v4, s52                                // 00000000E79C: D1ED0056 00D20905
	v_cmp_u_f32_e64 s[46:47], v94, v94                         // 00000000E7A4: D048002E 0002BD5E
	v_add3_u32 v16, v94, v19, 1                                // 00000000E7AC: D1FF0010 0206275E
	v_cndmask_b32_e64 v4, v16, v18, s[46:47]                   // 00000000E7B4: D1000004 00BA2510
	v_cmp_u_f32_e64 s[46:47], v95, v95                         // 00000000E7BC: D048002E 0002BF5F
	v_add3_u32 v16, v95, v19, 1                                // 00000000E7C4: D1FF0010 0206275F
	v_cndmask_b32_e64 v5, v16, v18, s[46:47]                   // 00000000E7CC: D1000005 00BA2510
	v_perm_b32 v87, v5, v4, s52                                // 00000000E7D4: D1ED0057 00D20905
	v_cmp_u_f32_e64 s[46:47], v96, v96                         // 00000000E7DC: D048002E 0002C160
	v_add3_u32 v16, v96, v19, 1                                // 00000000E7E4: D1FF0010 02062760
	v_cndmask_b32_e64 v4, v16, v18, s[46:47]                   // 00000000E7EC: D1000004 00BA2510
	v_cmp_u_f32_e64 s[46:47], v97, v97                         // 00000000E7F4: D048002E 0002C361
	v_add3_u32 v16, v97, v19, 1                                // 00000000E7FC: D1FF0010 02062761
	v_cndmask_b32_e64 v5, v16, v18, s[46:47]                   // 00000000E804: D1000005 00BA2510
	v_perm_b32 v88, v5, v4, s52                                // 00000000E80C: D1ED0058 00D20905
	v_cmp_u_f32_e64 s[46:47], v98, v98                         // 00000000E814: D048002E 0002C562
	v_add3_u32 v16, v98, v19, 1                                // 00000000E81C: D1FF0010 02062762
	v_cndmask_b32_e64 v4, v16, v18, s[46:47]                   // 00000000E824: D1000004 00BA2510
	v_cmp_u_f32_e64 s[46:47], v99, v99                         // 00000000E82C: D048002E 0002C763
	v_add3_u32 v16, v99, v19, 1                                // 00000000E834: D1FF0010 02062763
	v_cndmask_b32_e64 v5, v16, v18, s[46:47]                   // 00000000E83C: D1000005 00BA2510
	v_perm_b32 v89, v5, v4, s52                                // 00000000E844: D1ED0059 00D20905
	v_cmp_u_f32_e64 s[46:47], v100, v100                       // 00000000E84C: D048002E 0002C964
	v_add3_u32 v16, v100, v19, 1                               // 00000000E854: D1FF0010 02062764
	v_cndmask_b32_e64 v4, v16, v18, s[46:47]                   // 00000000E85C: D1000004 00BA2510
	v_cmp_u_f32_e64 s[46:47], v101, v101                       // 00000000E864: D048002E 0002CB65
	v_add3_u32 v16, v101, v19, 1                               // 00000000E86C: D1FF0010 02062765
	v_cndmask_b32_e64 v5, v16, v18, s[46:47]                   // 00000000E874: D1000005 00BA2510
	v_perm_b32 v90, v5, v4, s52                                // 00000000E87C: D1ED005A 00D20905
	v_cmp_u_f32_e64 s[46:47], v102, v102                       // 00000000E884: D048002E 0002CD66
	v_add3_u32 v16, v102, v19, 1                               // 00000000E88C: D1FF0010 02062766
	v_cndmask_b32_e64 v4, v16, v18, s[46:47]                   // 00000000E894: D1000004 00BA2510
	v_cmp_u_f32_e64 s[46:47], v103, v103                       // 00000000E89C: D048002E 0002CF67
	v_add3_u32 v16, v103, v19, 1                               // 00000000E8A4: D1FF0010 02062767
	v_cndmask_b32_e64 v5, v16, v18, s[46:47]                   // 00000000E8AC: D1000005 00BA2510
	v_perm_b32 v91, v5, v4, s52                                // 00000000E8B4: D1ED005B 00D20905
	v_cmp_u_f32_e64 s[46:47], v104, v104                       // 00000000E8BC: D048002E 0002D168
	v_add3_u32 v16, v104, v19, 1                               // 00000000E8C4: D1FF0010 02062768
	v_cndmask_b32_e64 v4, v16, v18, s[46:47]                   // 00000000E8CC: D1000004 00BA2510
	v_cmp_u_f32_e64 s[46:47], v105, v105                       // 00000000E8D4: D048002E 0002D369
	v_add3_u32 v16, v105, v19, 1                               // 00000000E8DC: D1FF0010 02062769
	v_cndmask_b32_e64 v5, v16, v18, s[46:47]                   // 00000000E8E4: D1000005 00BA2510
	v_perm_b32 v92, v5, v4, s52                                // 00000000E8EC: D1ED005C 00D20905
	v_cmp_u_f32_e64 s[46:47], v106, v106                       // 00000000E8F4: D048002E 0002D56A
	v_add3_u32 v16, v106, v19, 1                               // 00000000E8FC: D1FF0010 0206276A
	v_cndmask_b32_e64 v4, v16, v18, s[46:47]                   // 00000000E904: D1000004 00BA2510
	v_cmp_u_f32_e64 s[46:47], v107, v107                       // 00000000E90C: D048002E 0002D76B
	v_add3_u32 v16, v107, v19, 1                               // 00000000E914: D1FF0010 0206276B
	v_cndmask_b32_e64 v5, v16, v18, s[46:47]                   // 00000000E91C: D1000005 00BA2510
	v_perm_b32 v93, v5, v4, s52                                // 00000000E924: D1ED005D 00D20905
	v_cmp_u_f32_e64 s[46:47], v108, v108                       // 00000000E92C: D048002E 0002D96C
	v_add3_u32 v16, v108, v19, 1                               // 00000000E934: D1FF0010 0206276C
	v_cndmask_b32_e64 v4, v16, v18, s[46:47]                   // 00000000E93C: D1000004 00BA2510
	v_cmp_u_f32_e64 s[46:47], v109, v109                       // 00000000E944: D048002E 0002DB6D
	v_add3_u32 v16, v109, v19, 1                               // 00000000E94C: D1FF0010 0206276D
	v_cndmask_b32_e64 v5, v16, v18, s[46:47]                   // 00000000E954: D1000005 00BA2510
	v_perm_b32 v94, v5, v4, s52                                // 00000000E95C: D1ED005E 00D20905
	v_cmp_u_f32_e64 s[46:47], v110, v110                       // 00000000E964: D048002E 0002DD6E
	v_add3_u32 v16, v110, v19, 1                               // 00000000E96C: D1FF0010 0206276E
	v_cndmask_b32_e64 v4, v16, v18, s[46:47]                   // 00000000E974: D1000004 00BA2510
	v_cmp_u_f32_e64 s[46:47], v111, v111                       // 00000000E97C: D048002E 0002DF6F
	v_add3_u32 v16, v111, v19, 1                               // 00000000E984: D1FF0010 0206276F
	v_cndmask_b32_e64 v5, v16, v18, s[46:47]                   // 00000000E98C: D1000005 00BA2510
	v_perm_b32 v95, v5, v4, s52                                // 00000000E994: D1ED005F 00D20905
	v_cmp_u_f32_e64 s[46:47], v112, v112                       // 00000000E99C: D048002E 0002E170
	v_add3_u32 v16, v112, v19, 1                               // 00000000E9A4: D1FF0010 02062770
	v_cndmask_b32_e64 v4, v16, v18, s[46:47]                   // 00000000E9AC: D1000004 00BA2510
	v_cmp_u_f32_e64 s[46:47], v113, v113                       // 00000000E9B4: D048002E 0002E371
	v_add3_u32 v16, v113, v19, 1                               // 00000000E9BC: D1FF0010 02062771
	v_cndmask_b32_e64 v5, v16, v18, s[46:47]                   // 00000000E9C4: D1000005 00BA2510
	v_perm_b32 v96, v5, v4, s52                                // 00000000E9CC: D1ED0060 00D20905
	v_cmp_u_f32_e64 s[46:47], v114, v114                       // 00000000E9D4: D048002E 0002E572
	v_add3_u32 v16, v114, v19, 1                               // 00000000E9DC: D1FF0010 02062772
	v_cndmask_b32_e64 v4, v16, v18, s[46:47]                   // 00000000E9E4: D1000004 00BA2510
	v_cmp_u_f32_e64 s[46:47], v115, v115                       // 00000000E9EC: D048002E 0002E773
	v_add3_u32 v16, v115, v19, 1                               // 00000000E9F4: D1FF0010 02062773
	v_cndmask_b32_e64 v5, v16, v18, s[46:47]                   // 00000000E9FC: D1000005 00BA2510
	v_perm_b32 v97, v5, v4, s52                                // 00000000EA04: D1ED0061 00D20905
	v_cmp_u_f32_e64 s[46:47], v116, v116                       // 00000000EA0C: D048002E 0002E974
	v_add3_u32 v16, v116, v19, 1                               // 00000000EA14: D1FF0010 02062774
	v_cndmask_b32_e64 v4, v16, v18, s[46:47]                   // 00000000EA1C: D1000004 00BA2510
	v_cmp_u_f32_e64 s[46:47], v117, v117                       // 00000000EA24: D048002E 0002EB75
	v_add3_u32 v16, v117, v19, 1                               // 00000000EA2C: D1FF0010 02062775
	v_cndmask_b32_e64 v5, v16, v18, s[46:47]                   // 00000000EA34: D1000005 00BA2510
	v_perm_b32 v98, v5, v4, s52                                // 00000000EA3C: D1ED0062 00D20905
	v_cmp_u_f32_e64 s[46:47], v118, v118                       // 00000000EA44: D048002E 0002ED76
	v_add3_u32 v16, v118, v19, 1                               // 00000000EA4C: D1FF0010 02062776
	v_cndmask_b32_e64 v4, v16, v18, s[46:47]                   // 00000000EA54: D1000004 00BA2510
	v_cmp_u_f32_e64 s[46:47], v119, v119                       // 00000000EA5C: D048002E 0002EF77
	v_add3_u32 v16, v119, v19, 1                               // 00000000EA64: D1FF0010 02062777
	v_cndmask_b32_e64 v5, v16, v18, s[46:47]                   // 00000000EA6C: D1000005 00BA2510
	v_perm_b32 v99, v5, v4, s52                                // 00000000EA74: D1ED0063 00D20905
	v_cmp_u_f32_e64 s[46:47], v120, v120                       // 00000000EA7C: D048002E 0002F178
	v_add3_u32 v16, v120, v19, 1                               // 00000000EA84: D1FF0010 02062778
	v_cndmask_b32_e64 v4, v16, v18, s[46:47]                   // 00000000EA8C: D1000004 00BA2510
	v_cmp_u_f32_e64 s[46:47], v121, v121                       // 00000000EA94: D048002E 0002F379
	v_add3_u32 v16, v121, v19, 1                               // 00000000EA9C: D1FF0010 02062779
	v_cndmask_b32_e64 v5, v16, v18, s[46:47]                   // 00000000EAA4: D1000005 00BA2510
	v_perm_b32 v100, v5, v4, s52                               // 00000000EAAC: D1ED0064 00D20905
	v_cmp_u_f32_e64 s[46:47], v122, v122                       // 00000000EAB4: D048002E 0002F57A
	v_add3_u32 v16, v122, v19, 1                               // 00000000EABC: D1FF0010 0206277A
	v_cndmask_b32_e64 v4, v16, v18, s[46:47]                   // 00000000EAC4: D1000004 00BA2510
	v_cmp_u_f32_e64 s[46:47], v123, v123                       // 00000000EACC: D048002E 0002F77B
	v_add3_u32 v16, v123, v19, 1                               // 00000000EAD4: D1FF0010 0206277B
	v_cndmask_b32_e64 v5, v16, v18, s[46:47]                   // 00000000EADC: D1000005 00BA2510
	v_perm_b32 v101, v5, v4, s52                               // 00000000EAE4: D1ED0065 00D20905
	v_cmp_u_f32_e64 s[46:47], v124, v124                       // 00000000EAEC: D048002E 0002F97C
	v_add3_u32 v16, v124, v19, 1                               // 00000000EAF4: D1FF0010 0206277C
	v_cndmask_b32_e64 v4, v16, v18, s[46:47]                   // 00000000EAFC: D1000004 00BA2510
	v_cmp_u_f32_e64 s[46:47], v125, v125                       // 00000000EB04: D048002E 0002FB7D
	v_add3_u32 v16, v125, v19, 1                               // 00000000EB0C: D1FF0010 0206277D
	v_cndmask_b32_e64 v5, v16, v18, s[46:47]                   // 00000000EB14: D1000005 00BA2510
	v_perm_b32 v102, v5, v4, s52                               // 00000000EB1C: D1ED0066 00D20905
	v_cmp_u_f32_e64 s[46:47], v126, v126                       // 00000000EB24: D048002E 0002FD7E
	v_add3_u32 v16, v126, v19, 1                               // 00000000EB2C: D1FF0010 0206277E
	v_cndmask_b32_e64 v4, v16, v18, s[46:47]                   // 00000000EB34: D1000004 00BA2510
	v_cmp_u_f32_e64 s[46:47], v127, v127                       // 00000000EB3C: D048002E 0002FF7F
	v_add3_u32 v16, v127, v19, 1                               // 00000000EB44: D1FF0010 0206277F
	v_cndmask_b32_e64 v5, v16, v18, s[46:47]                   // 00000000EB4C: D1000005 00BA2510
	v_perm_b32 v103, v5, v4, s52                               // 00000000EB54: D1ED0067 00D20905
	v_cmp_u_f32_e64 s[46:47], v128, v128                       // 00000000EB5C: D048002E 00030180
	v_add3_u32 v16, v128, v19, 1                               // 00000000EB64: D1FF0010 02062780
	v_cndmask_b32_e64 v4, v16, v18, s[46:47]                   // 00000000EB6C: D1000004 00BA2510
	v_cmp_u_f32_e64 s[46:47], v129, v129                       // 00000000EB74: D048002E 00030381
	v_add3_u32 v16, v129, v19, 1                               // 00000000EB7C: D1FF0010 02062781
	v_cndmask_b32_e64 v5, v16, v18, s[46:47]                   // 00000000EB84: D1000005 00BA2510
	v_perm_b32 v104, v5, v4, s52                               // 00000000EB8C: D1ED0068 00D20905
	v_cmp_u_f32_e64 s[46:47], v130, v130                       // 00000000EB94: D048002E 00030582
	v_add3_u32 v16, v130, v19, 1                               // 00000000EB9C: D1FF0010 02062782
	v_cndmask_b32_e64 v4, v16, v18, s[46:47]                   // 00000000EBA4: D1000004 00BA2510
	v_cmp_u_f32_e64 s[46:47], v131, v131                       // 00000000EBAC: D048002E 00030783
	v_add3_u32 v16, v131, v19, 1                               // 00000000EBB4: D1FF0010 02062783
	v_cndmask_b32_e64 v5, v16, v18, s[46:47]                   // 00000000EBBC: D1000005 00BA2510
	v_perm_b32 v105, v5, v4, s52                               // 00000000EBC4: D1ED0069 00D20905
	v_cmp_u_f32_e64 s[46:47], v132, v132                       // 00000000EBCC: D048002E 00030984
	v_add3_u32 v16, v132, v19, 1                               // 00000000EBD4: D1FF0010 02062784
	v_cndmask_b32_e64 v4, v16, v18, s[46:47]                   // 00000000EBDC: D1000004 00BA2510
	v_cmp_u_f32_e64 s[46:47], v133, v133                       // 00000000EBE4: D048002E 00030B85
	v_add3_u32 v16, v133, v19, 1                               // 00000000EBEC: D1FF0010 02062785
	v_cndmask_b32_e64 v5, v16, v18, s[46:47]                   // 00000000EBF4: D1000005 00BA2510
	v_perm_b32 v106, v5, v4, s52                               // 00000000EBFC: D1ED006A 00D20905
	v_cmp_u_f32_e64 s[46:47], v134, v134                       // 00000000EC04: D048002E 00030D86
	v_add3_u32 v16, v134, v19, 1                               // 00000000EC0C: D1FF0010 02062786
	v_cndmask_b32_e64 v4, v16, v18, s[46:47]                   // 00000000EC14: D1000004 00BA2510
	v_cmp_u_f32_e64 s[46:47], v135, v135                       // 00000000EC1C: D048002E 00030F87
	v_add3_u32 v16, v135, v19, 1                               // 00000000EC24: D1FF0010 02062787
	v_cndmask_b32_e64 v5, v16, v18, s[46:47]                   // 00000000EC2C: D1000005 00BA2510
	v_perm_b32 v107, v5, v4, s52                               // 00000000EC34: D1ED006B 00D20905
	v_cmp_u_f32_e64 s[46:47], v136, v136                       // 00000000EC3C: D048002E 00031188
	v_add3_u32 v16, v136, v19, 1                               // 00000000EC44: D1FF0010 02062788
	v_cndmask_b32_e64 v4, v16, v18, s[46:47]                   // 00000000EC4C: D1000004 00BA2510
	v_cmp_u_f32_e64 s[46:47], v137, v137                       // 00000000EC54: D048002E 00031389
	v_add3_u32 v16, v137, v19, 1                               // 00000000EC5C: D1FF0010 02062789
	v_cndmask_b32_e64 v5, v16, v18, s[46:47]                   // 00000000EC64: D1000005 00BA2510
	v_perm_b32 v108, v5, v4, s52                               // 00000000EC6C: D1ED006C 00D20905
	v_cmp_u_f32_e64 s[46:47], v138, v138                       // 00000000EC74: D048002E 0003158A
	v_add3_u32 v16, v138, v19, 1                               // 00000000EC7C: D1FF0010 0206278A
	v_cndmask_b32_e64 v4, v16, v18, s[46:47]                   // 00000000EC84: D1000004 00BA2510
	v_cmp_u_f32_e64 s[46:47], v139, v139                       // 00000000EC8C: D048002E 0003178B
	v_add3_u32 v16, v139, v19, 1                               // 00000000EC94: D1FF0010 0206278B
	v_cndmask_b32_e64 v5, v16, v18, s[46:47]                   // 00000000EC9C: D1000005 00BA2510
	v_perm_b32 v109, v5, v4, s52                               // 00000000ECA4: D1ED006D 00D20905
	v_cmp_u_f32_e64 s[46:47], v140, v140                       // 00000000ECAC: D048002E 0003198C
	v_add3_u32 v16, v140, v19, 1                               // 00000000ECB4: D1FF0010 0206278C
	v_cndmask_b32_e64 v4, v16, v18, s[46:47]                   // 00000000ECBC: D1000004 00BA2510
	v_cmp_u_f32_e64 s[46:47], v141, v141                       // 00000000ECC4: D048002E 00031B8D
	v_add3_u32 v16, v141, v19, 1                               // 00000000ECCC: D1FF0010 0206278D
	v_cndmask_b32_e64 v5, v16, v18, s[46:47]                   // 00000000ECD4: D1000005 00BA2510
	v_perm_b32 v110, v5, v4, s52                               // 00000000ECDC: D1ED006E 00D20905
	v_cmp_u_f32_e64 s[46:47], v142, v142                       // 00000000ECE4: D048002E 00031D8E
	v_add3_u32 v16, v142, v19, 1                               // 00000000ECEC: D1FF0010 0206278E
	v_cndmask_b32_e64 v4, v16, v18, s[46:47]                   // 00000000ECF4: D1000004 00BA2510
	v_cmp_u_f32_e64 s[46:47], v143, v143                       // 00000000ECFC: D048002E 00031F8F
	v_add3_u32 v16, v143, v19, 1                               // 00000000ED04: D1FF0010 0206278F
	v_cndmask_b32_e64 v5, v16, v18, s[46:47]                   // 00000000ED0C: D1000005 00BA2510
	v_perm_b32 v111, v5, v4, s52                               // 00000000ED14: D1ED006F 00D20905
	ds_write_b64 v20, v[80:81]                                 // 00000000ED1C: D89A0000 00005014
	ds_write_b64 v20, v[82:83] offset:4352                     // 00000000ED24: D89A1100 00005214
	ds_write_b64 v20, v[84:85] offset:8704                     // 00000000ED2C: D89A2200 00005414
	ds_write_b64 v20, v[86:87] offset:13056                    // 00000000ED34: D89A3300 00005614
	ds_write_b64 v20, v[88:89] offset:17408                    // 00000000ED3C: D89A4400 00005814
	ds_write_b64 v20, v[90:91] offset:21760                    // 00000000ED44: D89A5500 00005A14
	ds_write_b64 v20, v[92:93] offset:26112                    // 00000000ED4C: D89A6600 00005C14
	ds_write_b64 v20, v[94:95] offset:30464                    // 00000000ED54: D89A7700 00005E14
	ds_write_b64 v20, v[96:97] offset:2176                     // 00000000ED5C: D89A0880 00006014
	ds_write_b64 v20, v[98:99] offset:6528                     // 00000000ED64: D89A1980 00006214
	ds_write_b64 v20, v[100:101] offset:10880                  // 00000000ED6C: D89A2A80 00006414
	ds_write_b64 v20, v[102:103] offset:15232                  // 00000000ED74: D89A3B80 00006614
	ds_write_b64 v20, v[104:105] offset:19584                  // 00000000ED7C: D89A4C80 00006814
	ds_write_b64 v20, v[106:107] offset:23936                  // 00000000ED84: D89A5D80 00006A14
	ds_write_b64 v20, v[108:109] offset:28288                  // 00000000ED8C: D89A6E80 00006C14
	ds_write_b64 v20, v[110:111] offset:32640                  // 00000000ED94: D89A7F80 00006E14
	v_lshrrev_b32_e32 v4, 5, v0                                // 00000000ED9C: 20080085
	v_xor_b32_e32 v5, 1, v4                                    // 00000000EDA0: 2A0A0881
	s_mul_i32 s60, s65, 2                                      // 00000000EDA4: 923C8241
	s_cmp_eq_u32 s88, 0                                        // 00000000EDA8: BF068058
	s_cselect_b32 s61, 1, 4                                    // 00000000EDAC: 853D8481
	s_mul_i32 s60, s61, s60                                    // 00000000EDB0: 923C3C3D
	v_readlane_b32 s82, v3, 0                                  // 00000000EDB4: D2890052 00010103
	s_lshr_b32 s61, s82, 24                                    // 00000000EDBC: 8F3D9852
	s_and_b32 s82, s82, 0xffffff                               // 00000000EDC0: 8652FF52 00FFFFFF
	s_mul_i32 s82, s82, s71                                    // 00000000EDC8: 92524752
	s_mul_i32 s61, s60, s61                                    // 00000000EDCC: 923D3D3C
	s_add_u32 s82, s82, s61                                    // 00000000EDD0: 80523D52
	v_mul_lo_u32 v6, v5, s82                                   // 00000000EDD4: D2850006 0000A505
	v_readlane_b32 s82, v3, 1                                  // 00000000EDDC: D2890052 00010303
	s_lshr_b32 s61, s82, 24                                    // 00000000EDE4: 8F3D9852
	s_and_b32 s82, s82, 0xffffff                               // 00000000EDE8: 8652FF52 00FFFFFF
	s_mul_i32 s82, s82, s71                                    // 00000000EDF0: 92524752
	s_mul_i32 s61, s60, s61                                    // 00000000EDF4: 923D3D3C
	s_add_u32 s82, s82, s61                                    // 00000000EDF8: 80523D52
	v_mul_lo_u32 v7, v4, s82                                   // 00000000EDFC: D2850007 0000A504
	v_add_u32_e32 v62, v6, v7                                  // 00000000EE04: 687C0F06
	v_readlane_b32 s82, v3, 2                                  // 00000000EE08: D2890052 00010503
	s_lshr_b32 s61, s82, 24                                    // 00000000EE10: 8F3D9852
	s_and_b32 s82, s82, 0xffffff                               // 00000000EE14: 8652FF52 00FFFFFF
	s_mul_i32 s82, s82, s71                                    // 00000000EE1C: 92524752
	s_mul_i32 s61, s60, s61                                    // 00000000EE20: 923D3D3C
	s_add_u32 s82, s82, s61                                    // 00000000EE24: 80523D52
	v_mul_lo_u32 v6, v5, s82                                   // 00000000EE28: D2850006 0000A505
	v_readlane_b32 s82, v3, 3                                  // 00000000EE30: D2890052 00010703
	s_lshr_b32 s61, s82, 24                                    // 00000000EE38: 8F3D9852
	s_and_b32 s82, s82, 0xffffff                               // 00000000EE3C: 8652FF52 00FFFFFF
	s_mul_i32 s82, s82, s71                                    // 00000000EE44: 92524752
	s_mul_i32 s61, s60, s61                                    // 00000000EE48: 923D3D3C
	s_add_u32 s82, s82, s61                                    // 00000000EE4C: 80523D52
	v_mul_lo_u32 v7, v4, s82                                   // 00000000EE50: D2850007 0000A504
	v_add_u32_e32 v63, v6, v7                                  // 00000000EE58: 687E0F06
	v_readlane_b32 s82, v3, 4                                  // 00000000EE5C: D2890052 00010903
	s_lshr_b32 s61, s82, 24                                    // 00000000EE64: 8F3D9852
	s_and_b32 s82, s82, 0xffffff                               // 00000000EE68: 8652FF52 00FFFFFF
	s_mul_i32 s82, s82, s71                                    // 00000000EE70: 92524752
	s_mul_i32 s61, s60, s61                                    // 00000000EE74: 923D3D3C
	s_add_u32 s82, s82, s61                                    // 00000000EE78: 80523D52
	v_mul_lo_u32 v6, v5, s82                                   // 00000000EE7C: D2850006 0000A505
	v_readlane_b32 s82, v3, 5                                  // 00000000EE84: D2890052 00010B03
	s_lshr_b32 s61, s82, 24                                    // 00000000EE8C: 8F3D9852
	s_and_b32 s82, s82, 0xffffff                               // 00000000EE90: 8652FF52 00FFFFFF
	s_mul_i32 s82, s82, s71                                    // 00000000EE98: 92524752
	s_mul_i32 s61, s60, s61                                    // 00000000EE9C: 923D3D3C
	s_add_u32 s82, s82, s61                                    // 00000000EEA0: 80523D52
	v_mul_lo_u32 v7, v4, s82                                   // 00000000EEA4: D2850007 0000A504
	v_add_u32_e32 v64, v6, v7                                  // 00000000EEAC: 68800F06
	v_readlane_b32 s82, v3, 6                                  // 00000000EEB0: D2890052 00010D03
	s_lshr_b32 s61, s82, 24                                    // 00000000EEB8: 8F3D9852
	s_and_b32 s82, s82, 0xffffff                               // 00000000EEBC: 8652FF52 00FFFFFF
	s_mul_i32 s82, s82, s71                                    // 00000000EEC4: 92524752
	s_mul_i32 s61, s60, s61                                    // 00000000EEC8: 923D3D3C
	s_add_u32 s82, s82, s61                                    // 00000000EECC: 80523D52
	v_mul_lo_u32 v6, v5, s82                                   // 00000000EED0: D2850006 0000A505
	v_readlane_b32 s82, v3, 7                                  // 00000000EED8: D2890052 00010F03
	s_lshr_b32 s61, s82, 24                                    // 00000000EEE0: 8F3D9852
	s_and_b32 s82, s82, 0xffffff                               // 00000000EEE4: 8652FF52 00FFFFFF
	s_mul_i32 s82, s82, s71                                    // 00000000EEEC: 92524752
	s_mul_i32 s61, s60, s61                                    // 00000000EEF0: 923D3D3C
	s_add_u32 s82, s82, s61                                    // 00000000EEF4: 80523D52
	v_mul_lo_u32 v7, v4, s82                                   // 00000000EEF8: D2850007 0000A504
	v_add_u32_e32 v65, v6, v7                                  // 00000000EF00: 68820F06
	v_readlane_b32 s82, v3, 8                                  // 00000000EF04: D2890052 00011103
	s_lshr_b32 s61, s82, 24                                    // 00000000EF0C: 8F3D9852
	s_and_b32 s82, s82, 0xffffff                               // 00000000EF10: 8652FF52 00FFFFFF
	s_mul_i32 s82, s82, s71                                    // 00000000EF18: 92524752
	s_mul_i32 s61, s60, s61                                    // 00000000EF1C: 923D3D3C
	s_add_u32 s82, s82, s61                                    // 00000000EF20: 80523D52
	v_mul_lo_u32 v6, v5, s82                                   // 00000000EF24: D2850006 0000A505
	v_readlane_b32 s82, v3, 9                                  // 00000000EF2C: D2890052 00011303
	s_lshr_b32 s61, s82, 24                                    // 00000000EF34: 8F3D9852
	s_and_b32 s82, s82, 0xffffff                               // 00000000EF38: 8652FF52 00FFFFFF
	s_mul_i32 s82, s82, s71                                    // 00000000EF40: 92524752
	s_mul_i32 s61, s60, s61                                    // 00000000EF44: 923D3D3C
	s_add_u32 s82, s82, s61                                    // 00000000EF48: 80523D52
	v_mul_lo_u32 v7, v4, s82                                   // 00000000EF4C: D2850007 0000A504
	v_add_u32_e32 v66, v6, v7                                  // 00000000EF54: 68840F06
	v_readlane_b32 s82, v3, 10                                 // 00000000EF58: D2890052 00011503
	s_lshr_b32 s61, s82, 24                                    // 00000000EF60: 8F3D9852
	s_and_b32 s82, s82, 0xffffff                               // 00000000EF64: 8652FF52 00FFFFFF
	s_mul_i32 s82, s82, s71                                    // 00000000EF6C: 92524752
	s_mul_i32 s61, s60, s61                                    // 00000000EF70: 923D3D3C
	s_add_u32 s82, s82, s61                                    // 00000000EF74: 80523D52
	v_mul_lo_u32 v6, v5, s82                                   // 00000000EF78: D2850006 0000A505
	v_readlane_b32 s82, v3, 11                                 // 00000000EF80: D2890052 00011703
	s_lshr_b32 s61, s82, 24                                    // 00000000EF88: 8F3D9852
	s_and_b32 s82, s82, 0xffffff                               // 00000000EF8C: 8652FF52 00FFFFFF
	s_mul_i32 s82, s82, s71                                    // 00000000EF94: 92524752
	s_mul_i32 s61, s60, s61                                    // 00000000EF98: 923D3D3C
	s_add_u32 s82, s82, s61                                    // 00000000EF9C: 80523D52
	v_mul_lo_u32 v7, v4, s82                                   // 00000000EFA0: D2850007 0000A504
	v_add_u32_e32 v67, v6, v7                                  // 00000000EFA8: 68860F06
	v_readlane_b32 s82, v3, 12                                 // 00000000EFAC: D2890052 00011903
	s_lshr_b32 s61, s82, 24                                    // 00000000EFB4: 8F3D9852
	s_and_b32 s82, s82, 0xffffff                               // 00000000EFB8: 8652FF52 00FFFFFF
	s_mul_i32 s82, s82, s71                                    // 00000000EFC0: 92524752
	s_mul_i32 s61, s60, s61                                    // 00000000EFC4: 923D3D3C
	s_add_u32 s82, s82, s61                                    // 00000000EFC8: 80523D52
	v_mul_lo_u32 v6, v5, s82                                   // 00000000EFCC: D2850006 0000A505
	v_readlane_b32 s82, v3, 13                                 // 00000000EFD4: D2890052 00011B03
	s_lshr_b32 s61, s82, 24                                    // 00000000EFDC: 8F3D9852
	s_and_b32 s82, s82, 0xffffff                               // 00000000EFE0: 8652FF52 00FFFFFF
	s_mul_i32 s82, s82, s71                                    // 00000000EFE8: 92524752
	s_mul_i32 s61, s60, s61                                    // 00000000EFEC: 923D3D3C
	s_add_u32 s82, s82, s61                                    // 00000000EFF0: 80523D52
	v_mul_lo_u32 v7, v4, s82                                   // 00000000EFF4: D2850007 0000A504
	v_add_u32_e32 v68, v6, v7                                  // 00000000EFFC: 68880F06
	v_readlane_b32 s82, v3, 14                                 // 00000000F000: D2890052 00011D03
	s_lshr_b32 s61, s82, 24                                    // 00000000F008: 8F3D9852
	s_and_b32 s82, s82, 0xffffff                               // 00000000F00C: 8652FF52 00FFFFFF
	s_mul_i32 s82, s82, s71                                    // 00000000F014: 92524752
	s_mul_i32 s61, s60, s61                                    // 00000000F018: 923D3D3C
	s_add_u32 s82, s82, s61                                    // 00000000F01C: 80523D52
	v_mul_lo_u32 v6, v5, s82                                   // 00000000F020: D2850006 0000A505
	v_readlane_b32 s82, v3, 15                                 // 00000000F028: D2890052 00011F03
	s_lshr_b32 s61, s82, 24                                    // 00000000F030: 8F3D9852
	s_and_b32 s82, s82, 0xffffff                               // 00000000F034: 8652FF52 00FFFFFF
	s_mul_i32 s82, s82, s71                                    // 00000000F03C: 92524752
	s_mul_i32 s61, s60, s61                                    // 00000000F040: 923D3D3C
	s_add_u32 s82, s82, s61                                    // 00000000F044: 80523D52
	v_mul_lo_u32 v7, v4, s82                                   // 00000000F048: D2850007 0000A504
	v_add_u32_e32 v69, v6, v7                                  // 00000000F050: 688A0F06
	v_readlane_b32 s82, v3, 16                                 // 00000000F054: D2890052 00012103
	s_lshr_b32 s61, s82, 24                                    // 00000000F05C: 8F3D9852
	s_and_b32 s82, s82, 0xffffff                               // 00000000F060: 8652FF52 00FFFFFF
	s_mul_i32 s82, s82, s71                                    // 00000000F068: 92524752
	s_mul_i32 s61, s60, s61                                    // 00000000F06C: 923D3D3C
	s_add_u32 s82, s82, s61                                    // 00000000F070: 80523D52
	v_mul_lo_u32 v6, v5, s82                                   // 00000000F074: D2850006 0000A505
	v_readlane_b32 s82, v3, 17                                 // 00000000F07C: D2890052 00012303
	s_lshr_b32 s61, s82, 24                                    // 00000000F084: 8F3D9852
	s_and_b32 s82, s82, 0xffffff                               // 00000000F088: 8652FF52 00FFFFFF
	s_mul_i32 s82, s82, s71                                    // 00000000F090: 92524752
	s_mul_i32 s61, s60, s61                                    // 00000000F094: 923D3D3C
	s_add_u32 s82, s82, s61                                    // 00000000F098: 80523D52
	v_mul_lo_u32 v7, v4, s82                                   // 00000000F09C: D2850007 0000A504
	v_add_u32_e32 v70, v6, v7                                  // 00000000F0A4: 688C0F06
	v_readlane_b32 s82, v3, 18                                 // 00000000F0A8: D2890052 00012503
	s_lshr_b32 s61, s82, 24                                    // 00000000F0B0: 8F3D9852
	s_and_b32 s82, s82, 0xffffff                               // 00000000F0B4: 8652FF52 00FFFFFF
	s_mul_i32 s82, s82, s71                                    // 00000000F0BC: 92524752
	s_mul_i32 s61, s60, s61                                    // 00000000F0C0: 923D3D3C
	s_add_u32 s82, s82, s61                                    // 00000000F0C4: 80523D52
	v_mul_lo_u32 v6, v5, s82                                   // 00000000F0C8: D2850006 0000A505
	v_readlane_b32 s82, v3, 19                                 // 00000000F0D0: D2890052 00012703
	s_lshr_b32 s61, s82, 24                                    // 00000000F0D8: 8F3D9852
	s_and_b32 s82, s82, 0xffffff                               // 00000000F0DC: 8652FF52 00FFFFFF
	s_mul_i32 s82, s82, s71                                    // 00000000F0E4: 92524752
	s_mul_i32 s61, s60, s61                                    // 00000000F0E8: 923D3D3C
	s_add_u32 s82, s82, s61                                    // 00000000F0EC: 80523D52
	v_mul_lo_u32 v7, v4, s82                                   // 00000000F0F0: D2850007 0000A504
	v_add_u32_e32 v71, v6, v7                                  // 00000000F0F8: 688E0F06
	v_readlane_b32 s82, v3, 20                                 // 00000000F0FC: D2890052 00012903
	s_lshr_b32 s61, s82, 24                                    // 00000000F104: 8F3D9852
	s_and_b32 s82, s82, 0xffffff                               // 00000000F108: 8652FF52 00FFFFFF
	s_mul_i32 s82, s82, s71                                    // 00000000F110: 92524752
	s_mul_i32 s61, s60, s61                                    // 00000000F114: 923D3D3C
	s_add_u32 s82, s82, s61                                    // 00000000F118: 80523D52
	v_mul_lo_u32 v6, v5, s82                                   // 00000000F11C: D2850006 0000A505
	v_readlane_b32 s82, v3, 21                                 // 00000000F124: D2890052 00012B03
	s_lshr_b32 s61, s82, 24                                    // 00000000F12C: 8F3D9852
	s_and_b32 s82, s82, 0xffffff                               // 00000000F130: 8652FF52 00FFFFFF
	s_mul_i32 s82, s82, s71                                    // 00000000F138: 92524752
	s_mul_i32 s61, s60, s61                                    // 00000000F13C: 923D3D3C
	s_add_u32 s82, s82, s61                                    // 00000000F140: 80523D52
	v_mul_lo_u32 v7, v4, s82                                   // 00000000F144: D2850007 0000A504
	v_add_u32_e32 v72, v6, v7                                  // 00000000F14C: 68900F06
	v_readlane_b32 s82, v3, 22                                 // 00000000F150: D2890052 00012D03
	s_lshr_b32 s61, s82, 24                                    // 00000000F158: 8F3D9852
	s_and_b32 s82, s82, 0xffffff                               // 00000000F15C: 8652FF52 00FFFFFF
	s_mul_i32 s82, s82, s71                                    // 00000000F164: 92524752
	s_mul_i32 s61, s60, s61                                    // 00000000F168: 923D3D3C
	s_add_u32 s82, s82, s61                                    // 00000000F16C: 80523D52
	v_mul_lo_u32 v6, v5, s82                                   // 00000000F170: D2850006 0000A505
	v_readlane_b32 s82, v3, 23                                 // 00000000F178: D2890052 00012F03
	s_lshr_b32 s61, s82, 24                                    // 00000000F180: 8F3D9852
	s_and_b32 s82, s82, 0xffffff                               // 00000000F184: 8652FF52 00FFFFFF
	s_mul_i32 s82, s82, s71                                    // 00000000F18C: 92524752
	s_mul_i32 s61, s60, s61                                    // 00000000F190: 923D3D3C
	s_add_u32 s82, s82, s61                                    // 00000000F194: 80523D52
	v_mul_lo_u32 v7, v4, s82                                   // 00000000F198: D2850007 0000A504
	v_add_u32_e32 v73, v6, v7                                  // 00000000F1A0: 68920F06
	v_readlane_b32 s82, v3, 24                                 // 00000000F1A4: D2890052 00013103
	s_lshr_b32 s61, s82, 24                                    // 00000000F1AC: 8F3D9852
	s_and_b32 s82, s82, 0xffffff                               // 00000000F1B0: 8652FF52 00FFFFFF
	s_mul_i32 s82, s82, s71                                    // 00000000F1B8: 92524752
	s_mul_i32 s61, s60, s61                                    // 00000000F1BC: 923D3D3C
	s_add_u32 s82, s82, s61                                    // 00000000F1C0: 80523D52
	v_mul_lo_u32 v6, v5, s82                                   // 00000000F1C4: D2850006 0000A505
	v_readlane_b32 s82, v3, 25                                 // 00000000F1CC: D2890052 00013303
	s_lshr_b32 s61, s82, 24                                    // 00000000F1D4: 8F3D9852
	s_and_b32 s82, s82, 0xffffff                               // 00000000F1D8: 8652FF52 00FFFFFF
	s_mul_i32 s82, s82, s71                                    // 00000000F1E0: 92524752
	s_mul_i32 s61, s60, s61                                    // 00000000F1E4: 923D3D3C
	s_add_u32 s82, s82, s61                                    // 00000000F1E8: 80523D52
	v_mul_lo_u32 v7, v4, s82                                   // 00000000F1EC: D2850007 0000A504
	v_add_u32_e32 v74, v6, v7                                  // 00000000F1F4: 68940F06
	v_readlane_b32 s82, v3, 26                                 // 00000000F1F8: D2890052 00013503
	s_lshr_b32 s61, s82, 24                                    // 00000000F200: 8F3D9852
	s_and_b32 s82, s82, 0xffffff                               // 00000000F204: 8652FF52 00FFFFFF
	s_mul_i32 s82, s82, s71                                    // 00000000F20C: 92524752
	s_mul_i32 s61, s60, s61                                    // 00000000F210: 923D3D3C
	s_add_u32 s82, s82, s61                                    // 00000000F214: 80523D52
	v_mul_lo_u32 v6, v5, s82                                   // 00000000F218: D2850006 0000A505
	v_readlane_b32 s82, v3, 27                                 // 00000000F220: D2890052 00013703
	s_lshr_b32 s61, s82, 24                                    // 00000000F228: 8F3D9852
	s_and_b32 s82, s82, 0xffffff                               // 00000000F22C: 8652FF52 00FFFFFF
	s_mul_i32 s82, s82, s71                                    // 00000000F234: 92524752
	s_mul_i32 s61, s60, s61                                    // 00000000F238: 923D3D3C
	s_add_u32 s82, s82, s61                                    // 00000000F23C: 80523D52
	v_mul_lo_u32 v7, v4, s82                                   // 00000000F240: D2850007 0000A504
	v_add_u32_e32 v75, v6, v7                                  // 00000000F248: 68960F06
	v_readlane_b32 s82, v3, 28                                 // 00000000F24C: D2890052 00013903
	s_lshr_b32 s61, s82, 24                                    // 00000000F254: 8F3D9852
	s_and_b32 s82, s82, 0xffffff                               // 00000000F258: 8652FF52 00FFFFFF
	s_mul_i32 s82, s82, s71                                    // 00000000F260: 92524752
	s_mul_i32 s61, s60, s61                                    // 00000000F264: 923D3D3C
	s_add_u32 s82, s82, s61                                    // 00000000F268: 80523D52
	v_mul_lo_u32 v6, v5, s82                                   // 00000000F26C: D2850006 0000A505
	v_readlane_b32 s82, v3, 29                                 // 00000000F274: D2890052 00013B03
	s_lshr_b32 s61, s82, 24                                    // 00000000F27C: 8F3D9852
	s_and_b32 s82, s82, 0xffffff                               // 00000000F280: 8652FF52 00FFFFFF
	s_mul_i32 s82, s82, s71                                    // 00000000F288: 92524752
	s_mul_i32 s61, s60, s61                                    // 00000000F28C: 923D3D3C
	s_add_u32 s82, s82, s61                                    // 00000000F290: 80523D52
	v_mul_lo_u32 v7, v4, s82                                   // 00000000F294: D2850007 0000A504
	v_add_u32_e32 v76, v6, v7                                  // 00000000F29C: 68980F06
	v_readlane_b32 s82, v3, 30                                 // 00000000F2A0: D2890052 00013D03
	s_lshr_b32 s61, s82, 24                                    // 00000000F2A8: 8F3D9852
	s_and_b32 s82, s82, 0xffffff                               // 00000000F2AC: 8652FF52 00FFFFFF
	s_mul_i32 s82, s82, s71                                    // 00000000F2B4: 92524752
	s_mul_i32 s61, s60, s61                                    // 00000000F2B8: 923D3D3C
	s_add_u32 s82, s82, s61                                    // 00000000F2BC: 80523D52
	v_mul_lo_u32 v6, v5, s82                                   // 00000000F2C0: D2850006 0000A505
	v_readlane_b32 s82, v3, 31                                 // 00000000F2C8: D2890052 00013F03
	s_lshr_b32 s61, s82, 24                                    // 00000000F2D0: 8F3D9852
	s_and_b32 s82, s82, 0xffffff                               // 00000000F2D4: 8652FF52 00FFFFFF
	s_mul_i32 s82, s82, s71                                    // 00000000F2DC: 92524752
	s_mul_i32 s61, s60, s61                                    // 00000000F2E0: 923D3D3C
	s_add_u32 s82, s82, s61                                    // 00000000F2E4: 80523D52
	v_mul_lo_u32 v7, v4, s82                                   // 00000000F2E8: D2850007 0000A504
	v_add_u32_e32 v77, v6, v7                                  // 00000000F2F0: 689A0F06
	v_and_b32_e32 v4, 31, v0                                   // 00000000F2F4: 2608009F
	v_lshrrev_b32_e32 v4, 1, v4                                // 00000000F2F8: 20080881
	s_cmp_eq_u32 s88, 0                                        // 00000000F2FC: BF068058
	s_cselect_b32 s61, 2, 4                                    // 00000000F300: 853D8482
	v_mul_lo_u32 v4, v4, s61                                   // 00000000F304: D2850004 00007B04
	v_and_b32_e64 v5, v0, 1                                    // 00000000F30C: D1130005 00010300
	v_add_u32_e32 v4, v4, v5                                   // 00000000F314: 68080B04
	v_lshlrev_b32_e32 v4, 2, v4                                // 00000000F318: 24080882
	v_add_u32_e32 v62, v62, v4                                 // 00000000F31C: 687C093E
	v_add_u32_e32 v63, v63, v4                                 // 00000000F320: 687E093F
	v_add_u32_e32 v64, v64, v4                                 // 00000000F324: 68800940
	v_add_u32_e32 v65, v65, v4                                 // 00000000F328: 68820941
	v_add_u32_e32 v66, v66, v4                                 // 00000000F32C: 68840942
	v_add_u32_e32 v67, v67, v4                                 // 00000000F330: 68860943
	v_add_u32_e32 v68, v68, v4                                 // 00000000F334: 68880944
	v_add_u32_e32 v69, v69, v4                                 // 00000000F338: 688A0945
	v_add_u32_e32 v70, v70, v4                                 // 00000000F33C: 688C0946
	v_add_u32_e32 v71, v71, v4                                 // 00000000F340: 688E0947
	v_add_u32_e32 v72, v72, v4                                 // 00000000F344: 68900948
	v_add_u32_e32 v73, v73, v4                                 // 00000000F348: 68920949
	v_add_u32_e32 v74, v74, v4                                 // 00000000F34C: 6894094A
	v_add_u32_e32 v75, v75, v4                                 // 00000000F350: 6896094B
	v_add_u32_e32 v76, v76, v4                                 // 00000000F354: 6898094C
	v_add_u32_e32 v77, v77, v4                                 // 00000000F358: 689A094D
	s_waitcnt lgkmcnt(0)                                       // 00000000F35C: BF8CC07F
	s_barrier                                                  // 00000000F360: BF8A0000
	ds_read_b32 v80, v21                                       // 00000000F364: D86C0000 50000015
	ds_read_b32 v81, v21 offset:64                             // 00000000F36C: D86C0040 51000015
	ds_read_b32 v82, v21 offset:2176                           // 00000000F374: D86C0880 52000015
	ds_read_b32 v83, v21 offset:2240                           // 00000000F37C: D86C08C0 53000015
	ds_read_b32 v84, v21 offset:4352                           // 00000000F384: D86C1100 54000015
	ds_read_b32 v85, v21 offset:4416                           // 00000000F38C: D86C1140 55000015
	ds_read_b32 v86, v21 offset:6528                           // 00000000F394: D86C1980 56000015
	ds_read_b32 v87, v21 offset:6592                           // 00000000F39C: D86C19C0 57000015
	ds_read_b32 v88, v21 offset:8704                           // 00000000F3A4: D86C2200 58000015
	ds_read_b32 v89, v21 offset:8768                           // 00000000F3AC: D86C2240 59000015
	ds_read_b32 v90, v21 offset:10880                          // 00000000F3B4: D86C2A80 5A000015
	ds_read_b32 v91, v21 offset:10944                          // 00000000F3BC: D86C2AC0 5B000015
	ds_read_b32 v92, v21 offset:13056                          // 00000000F3C4: D86C3300 5C000015
	ds_read_b32 v93, v21 offset:13120                          // 00000000F3CC: D86C3340 5D000015
	ds_read_b32 v94, v21 offset:15232                          // 00000000F3D4: D86C3B80 5E000015
	ds_read_b32 v95, v21 offset:15296                          // 00000000F3DC: D86C3BC0 5F000015
	ds_read_b32 v96, v21 offset:17408                          // 00000000F3E4: D86C4400 60000015
	ds_read_b32 v97, v21 offset:17472                          // 00000000F3EC: D86C4440 61000015
	ds_read_b32 v98, v21 offset:19584                          // 00000000F3F4: D86C4C80 62000015
	ds_read_b32 v99, v21 offset:19648                          // 00000000F3FC: D86C4CC0 63000015
	ds_read_b32 v100, v21 offset:21760                         // 00000000F404: D86C5500 64000015
	ds_read_b32 v101, v21 offset:21824                         // 00000000F40C: D86C5540 65000015
	ds_read_b32 v102, v21 offset:23936                         // 00000000F414: D86C5D80 66000015
	ds_read_b32 v103, v21 offset:24000                         // 00000000F41C: D86C5DC0 67000015
	ds_read_b32 v104, v21 offset:26112                         // 00000000F424: D86C6600 68000015
	ds_read_b32 v105, v21 offset:26176                         // 00000000F42C: D86C6640 69000015
	ds_read_b32 v106, v21 offset:28288                         // 00000000F434: D86C6E80 6A000015
	ds_read_b32 v107, v21 offset:28352                         // 00000000F43C: D86C6EC0 6B000015
	ds_read_b32 v108, v21 offset:30464                         // 00000000F444: D86C7700 6C000015
	ds_read_b32 v109, v21 offset:30528                         // 00000000F44C: D86C7740 6D000015
	ds_read_b32 v110, v21 offset:32640                         // 00000000F454: D86C7F80 6E000015
	ds_read_b32 v111, v21 offset:32704                         // 00000000F45C: D86C7FC0 6F000015
	s_waitcnt lgkmcnt(0)                                       // 00000000F464: BF8CC07F
	s_mov_b32 s36, -1                                          // 00000000F468: BEA400C1
	s_mov_b32 s37, -1                                          // 00000000F46C: BEA500C1
	v_mov_b32_e32 v7, 0                                        // 00000000F470: 7E0E0280
	s_or_b32 s9, s9, 0x40000                                   // 00000000F474: 8709FF09 00040000
	s_mov_b64 exec, s[36:37]                                   // 00000000F47C: BEFE0124
	v_mov_b32_e32 v6, v62                                      // 00000000F480: 7E0C033E
	s_mov_b64 s[60:61], 0                                      // 00000000F484: BEBC0180
	v_readlane_b32 s82, v3, 0                                  // 00000000F488: D2890052 00010103
	s_and_b32 s82, s82, 0xffffff                               // 00000000F490: 8652FF52 00FFFFFF
	s_cmp_lt_u32 s82, s66                                      // 00000000F498: BF0A4252
	s_cselect_b32 s20, s36, s60                                // 00000000F49C: 85143C24
	v_readlane_b32 s82, v3, 1                                  // 00000000F4A0: D2890052 00010303
	s_and_b32 s82, s82, 0xffffff                               // 00000000F4A8: 8652FF52 00FFFFFF
	s_cmp_lt_u32 s82, s66                                      // 00000000F4B0: BF0A4252
	s_cselect_b32 s21, s36, s60                                // 00000000F4B4: 85153C24
	s_mov_b64 exec, s[20:21]                                   // 00000000F4B8: BEFE0114
	buffer_store_dword v80, v6, s[8:11], 0 offen               // 00000000F4BC: E0701000 80025006
	buffer_store_dword v82, v6, s[8:11], 0 offen offset:128    // 00000000F4C4: E0701080 80025206
	s_mov_b64 exec, s[36:37]                                   // 00000000F4CC: BEFE0124
	v_mov_b32_e32 v6, v63                                      // 00000000F4D0: 7E0C033F
	s_mov_b64 s[60:61], 0                                      // 00000000F4D4: BEBC0180
	v_readlane_b32 s82, v3, 2                                  // 00000000F4D8: D2890052 00010503
	s_and_b32 s82, s82, 0xffffff                               // 00000000F4E0: 8652FF52 00FFFFFF
	s_cmp_lt_u32 s82, s66                                      // 00000000F4E8: BF0A4252
	s_cselect_b32 s20, s36, s60                                // 00000000F4EC: 85143C24
	v_readlane_b32 s82, v3, 3                                  // 00000000F4F0: D2890052 00010703
	s_and_b32 s82, s82, 0xffffff                               // 00000000F4F8: 8652FF52 00FFFFFF
	s_cmp_lt_u32 s82, s66                                      // 00000000F500: BF0A4252
	s_cselect_b32 s21, s36, s60                                // 00000000F504: 85153C24
	s_mov_b64 exec, s[20:21]                                   // 00000000F508: BEFE0114
	buffer_store_dword v81, v6, s[8:11], 0 offen               // 00000000F50C: E0701000 80025106
	buffer_store_dword v83, v6, s[8:11], 0 offen offset:128    // 00000000F514: E0701080 80025306
	s_mov_b64 exec, s[36:37]                                   // 00000000F51C: BEFE0124
	v_mov_b32_e32 v6, v64                                      // 00000000F520: 7E0C0340
	s_mov_b64 s[60:61], 0                                      // 00000000F524: BEBC0180
	v_readlane_b32 s82, v3, 4                                  // 00000000F528: D2890052 00010903
	s_and_b32 s82, s82, 0xffffff                               // 00000000F530: 8652FF52 00FFFFFF
	s_cmp_lt_u32 s82, s66                                      // 00000000F538: BF0A4252
	s_cselect_b32 s20, s36, s60                                // 00000000F53C: 85143C24
	v_readlane_b32 s82, v3, 5                                  // 00000000F540: D2890052 00010B03
	s_and_b32 s82, s82, 0xffffff                               // 00000000F548: 8652FF52 00FFFFFF
	s_cmp_lt_u32 s82, s66                                      // 00000000F550: BF0A4252
	s_cselect_b32 s21, s36, s60                                // 00000000F554: 85153C24
	s_mov_b64 exec, s[20:21]                                   // 00000000F558: BEFE0114
	buffer_store_dword v84, v6, s[8:11], 0 offen               // 00000000F55C: E0701000 80025406
	buffer_store_dword v86, v6, s[8:11], 0 offen offset:128    // 00000000F564: E0701080 80025606
	s_mov_b64 exec, s[36:37]                                   // 00000000F56C: BEFE0124
	v_mov_b32_e32 v6, v65                                      // 00000000F570: 7E0C0341
	s_mov_b64 s[60:61], 0                                      // 00000000F574: BEBC0180
	v_readlane_b32 s82, v3, 6                                  // 00000000F578: D2890052 00010D03
	s_and_b32 s82, s82, 0xffffff                               // 00000000F580: 8652FF52 00FFFFFF
	s_cmp_lt_u32 s82, s66                                      // 00000000F588: BF0A4252
	s_cselect_b32 s20, s36, s60                                // 00000000F58C: 85143C24
	v_readlane_b32 s82, v3, 7                                  // 00000000F590: D2890052 00010F03
	s_and_b32 s82, s82, 0xffffff                               // 00000000F598: 8652FF52 00FFFFFF
	s_cmp_lt_u32 s82, s66                                      // 00000000F5A0: BF0A4252
	s_cselect_b32 s21, s36, s60                                // 00000000F5A4: 85153C24
	s_mov_b64 exec, s[20:21]                                   // 00000000F5A8: BEFE0114
	buffer_store_dword v85, v6, s[8:11], 0 offen               // 00000000F5AC: E0701000 80025506
	buffer_store_dword v87, v6, s[8:11], 0 offen offset:128    // 00000000F5B4: E0701080 80025706
	s_mov_b64 exec, s[36:37]                                   // 00000000F5BC: BEFE0124
	v_mov_b32_e32 v6, v66                                      // 00000000F5C0: 7E0C0342
	s_mov_b64 s[60:61], 0                                      // 00000000F5C4: BEBC0180
	v_readlane_b32 s82, v3, 8                                  // 00000000F5C8: D2890052 00011103
	s_and_b32 s82, s82, 0xffffff                               // 00000000F5D0: 8652FF52 00FFFFFF
	s_cmp_lt_u32 s82, s66                                      // 00000000F5D8: BF0A4252
	s_cselect_b32 s20, s36, s60                                // 00000000F5DC: 85143C24
	v_readlane_b32 s82, v3, 9                                  // 00000000F5E0: D2890052 00011303
	s_and_b32 s82, s82, 0xffffff                               // 00000000F5E8: 8652FF52 00FFFFFF
	s_cmp_lt_u32 s82, s66                                      // 00000000F5F0: BF0A4252
	s_cselect_b32 s21, s36, s60                                // 00000000F5F4: 85153C24
	s_mov_b64 exec, s[20:21]                                   // 00000000F5F8: BEFE0114
	buffer_store_dword v88, v6, s[8:11], 0 offen               // 00000000F5FC: E0701000 80025806
	buffer_store_dword v90, v6, s[8:11], 0 offen offset:128    // 00000000F604: E0701080 80025A06
	s_mov_b64 exec, s[36:37]                                   // 00000000F60C: BEFE0124
	v_mov_b32_e32 v6, v67                                      // 00000000F610: 7E0C0343
	s_mov_b64 s[60:61], 0                                      // 00000000F614: BEBC0180
	v_readlane_b32 s82, v3, 10                                 // 00000000F618: D2890052 00011503
	s_and_b32 s82, s82, 0xffffff                               // 00000000F620: 8652FF52 00FFFFFF
	s_cmp_lt_u32 s82, s66                                      // 00000000F628: BF0A4252
	s_cselect_b32 s20, s36, s60                                // 00000000F62C: 85143C24
	v_readlane_b32 s82, v3, 11                                 // 00000000F630: D2890052 00011703
	s_and_b32 s82, s82, 0xffffff                               // 00000000F638: 8652FF52 00FFFFFF
	s_cmp_lt_u32 s82, s66                                      // 00000000F640: BF0A4252
	s_cselect_b32 s21, s36, s60                                // 00000000F644: 85153C24
	s_mov_b64 exec, s[20:21]                                   // 00000000F648: BEFE0114
	buffer_store_dword v89, v6, s[8:11], 0 offen               // 00000000F64C: E0701000 80025906
	buffer_store_dword v91, v6, s[8:11], 0 offen offset:128    // 00000000F654: E0701080 80025B06
	s_mov_b64 exec, s[36:37]                                   // 00000000F65C: BEFE0124
	v_mov_b32_e32 v6, v68                                      // 00000000F660: 7E0C0344
	s_mov_b64 s[60:61], 0                                      // 00000000F664: BEBC0180
	v_readlane_b32 s82, v3, 12                                 // 00000000F668: D2890052 00011903
	s_and_b32 s82, s82, 0xffffff                               // 00000000F670: 8652FF52 00FFFFFF
	s_cmp_lt_u32 s82, s66                                      // 00000000F678: BF0A4252
	s_cselect_b32 s20, s36, s60                                // 00000000F67C: 85143C24
	v_readlane_b32 s82, v3, 13                                 // 00000000F680: D2890052 00011B03
	s_and_b32 s82, s82, 0xffffff                               // 00000000F688: 8652FF52 00FFFFFF
	s_cmp_lt_u32 s82, s66                                      // 00000000F690: BF0A4252
	s_cselect_b32 s21, s36, s60                                // 00000000F694: 85153C24
	s_mov_b64 exec, s[20:21]                                   // 00000000F698: BEFE0114
	buffer_store_dword v92, v6, s[8:11], 0 offen               // 00000000F69C: E0701000 80025C06
	buffer_store_dword v94, v6, s[8:11], 0 offen offset:128    // 00000000F6A4: E0701080 80025E06
	s_mov_b64 exec, s[36:37]                                   // 00000000F6AC: BEFE0124
	v_mov_b32_e32 v6, v69                                      // 00000000F6B0: 7E0C0345
	s_mov_b64 s[60:61], 0                                      // 00000000F6B4: BEBC0180
	v_readlane_b32 s82, v3, 14                                 // 00000000F6B8: D2890052 00011D03
	s_and_b32 s82, s82, 0xffffff                               // 00000000F6C0: 8652FF52 00FFFFFF
	s_cmp_lt_u32 s82, s66                                      // 00000000F6C8: BF0A4252
	s_cselect_b32 s20, s36, s60                                // 00000000F6CC: 85143C24
	v_readlane_b32 s82, v3, 15                                 // 00000000F6D0: D2890052 00011F03
	s_and_b32 s82, s82, 0xffffff                               // 00000000F6D8: 8652FF52 00FFFFFF
	s_cmp_lt_u32 s82, s66                                      // 00000000F6E0: BF0A4252
	s_cselect_b32 s21, s36, s60                                // 00000000F6E4: 85153C24
	s_mov_b64 exec, s[20:21]                                   // 00000000F6E8: BEFE0114
	buffer_store_dword v93, v6, s[8:11], 0 offen               // 00000000F6EC: E0701000 80025D06
	buffer_store_dword v95, v6, s[8:11], 0 offen offset:128    // 00000000F6F4: E0701080 80025F06
	s_mov_b64 exec, s[36:37]                                   // 00000000F6FC: BEFE0124
	v_mov_b32_e32 v6, v70                                      // 00000000F700: 7E0C0346
	s_mov_b64 s[60:61], 0                                      // 00000000F704: BEBC0180
	v_readlane_b32 s82, v3, 16                                 // 00000000F708: D2890052 00012103
	s_and_b32 s82, s82, 0xffffff                               // 00000000F710: 8652FF52 00FFFFFF
	s_cmp_lt_u32 s82, s66                                      // 00000000F718: BF0A4252
	s_cselect_b32 s20, s36, s60                                // 00000000F71C: 85143C24
	v_readlane_b32 s82, v3, 17                                 // 00000000F720: D2890052 00012303
	s_and_b32 s82, s82, 0xffffff                               // 00000000F728: 8652FF52 00FFFFFF
	s_cmp_lt_u32 s82, s66                                      // 00000000F730: BF0A4252
	s_cselect_b32 s21, s36, s60                                // 00000000F734: 85153C24
	s_mov_b64 exec, s[20:21]                                   // 00000000F738: BEFE0114
	buffer_store_dword v96, v6, s[8:11], 0 offen               // 00000000F73C: E0701000 80026006
	buffer_store_dword v98, v6, s[8:11], 0 offen offset:128    // 00000000F744: E0701080 80026206
	s_mov_b64 exec, s[36:37]                                   // 00000000F74C: BEFE0124
	v_mov_b32_e32 v6, v71                                      // 00000000F750: 7E0C0347
	s_mov_b64 s[60:61], 0                                      // 00000000F754: BEBC0180
	v_readlane_b32 s82, v3, 18                                 // 00000000F758: D2890052 00012503
	s_and_b32 s82, s82, 0xffffff                               // 00000000F760: 8652FF52 00FFFFFF
	s_cmp_lt_u32 s82, s66                                      // 00000000F768: BF0A4252
	s_cselect_b32 s20, s36, s60                                // 00000000F76C: 85143C24
	v_readlane_b32 s82, v3, 19                                 // 00000000F770: D2890052 00012703
	s_and_b32 s82, s82, 0xffffff                               // 00000000F778: 8652FF52 00FFFFFF
	s_cmp_lt_u32 s82, s66                                      // 00000000F780: BF0A4252
	s_cselect_b32 s21, s36, s60                                // 00000000F784: 85153C24
	s_mov_b64 exec, s[20:21]                                   // 00000000F788: BEFE0114
	buffer_store_dword v97, v6, s[8:11], 0 offen               // 00000000F78C: E0701000 80026106
	buffer_store_dword v99, v6, s[8:11], 0 offen offset:128    // 00000000F794: E0701080 80026306
	s_mov_b64 exec, s[36:37]                                   // 00000000F79C: BEFE0124
	v_mov_b32_e32 v6, v72                                      // 00000000F7A0: 7E0C0348
	s_mov_b64 s[60:61], 0                                      // 00000000F7A4: BEBC0180
	v_readlane_b32 s82, v3, 20                                 // 00000000F7A8: D2890052 00012903
	s_and_b32 s82, s82, 0xffffff                               // 00000000F7B0: 8652FF52 00FFFFFF
	s_cmp_lt_u32 s82, s66                                      // 00000000F7B8: BF0A4252
	s_cselect_b32 s20, s36, s60                                // 00000000F7BC: 85143C24
	v_readlane_b32 s82, v3, 21                                 // 00000000F7C0: D2890052 00012B03
	s_and_b32 s82, s82, 0xffffff                               // 00000000F7C8: 8652FF52 00FFFFFF
	s_cmp_lt_u32 s82, s66                                      // 00000000F7D0: BF0A4252
	s_cselect_b32 s21, s36, s60                                // 00000000F7D4: 85153C24
	s_mov_b64 exec, s[20:21]                                   // 00000000F7D8: BEFE0114
	buffer_store_dword v100, v6, s[8:11], 0 offen              // 00000000F7DC: E0701000 80026406
	buffer_store_dword v102, v6, s[8:11], 0 offen offset:128   // 00000000F7E4: E0701080 80026606
	s_mov_b64 exec, s[36:37]                                   // 00000000F7EC: BEFE0124
	v_mov_b32_e32 v6, v73                                      // 00000000F7F0: 7E0C0349
	s_mov_b64 s[60:61], 0                                      // 00000000F7F4: BEBC0180
	v_readlane_b32 s82, v3, 22                                 // 00000000F7F8: D2890052 00012D03
	s_and_b32 s82, s82, 0xffffff                               // 00000000F800: 8652FF52 00FFFFFF
	s_cmp_lt_u32 s82, s66                                      // 00000000F808: BF0A4252
	s_cselect_b32 s20, s36, s60                                // 00000000F80C: 85143C24
	v_readlane_b32 s82, v3, 23                                 // 00000000F810: D2890052 00012F03
	s_and_b32 s82, s82, 0xffffff                               // 00000000F818: 8652FF52 00FFFFFF
	s_cmp_lt_u32 s82, s66                                      // 00000000F820: BF0A4252
	s_cselect_b32 s21, s36, s60                                // 00000000F824: 85153C24
	s_mov_b64 exec, s[20:21]                                   // 00000000F828: BEFE0114
	buffer_store_dword v101, v6, s[8:11], 0 offen              // 00000000F82C: E0701000 80026506
	buffer_store_dword v103, v6, s[8:11], 0 offen offset:128   // 00000000F834: E0701080 80026706
	s_mov_b64 exec, s[36:37]                                   // 00000000F83C: BEFE0124
	v_mov_b32_e32 v6, v74                                      // 00000000F840: 7E0C034A
	s_mov_b64 s[60:61], 0                                      // 00000000F844: BEBC0180
	v_readlane_b32 s82, v3, 24                                 // 00000000F848: D2890052 00013103
	s_and_b32 s82, s82, 0xffffff                               // 00000000F850: 8652FF52 00FFFFFF
	s_cmp_lt_u32 s82, s66                                      // 00000000F858: BF0A4252
	s_cselect_b32 s20, s36, s60                                // 00000000F85C: 85143C24
	v_readlane_b32 s82, v3, 25                                 // 00000000F860: D2890052 00013303
	s_and_b32 s82, s82, 0xffffff                               // 00000000F868: 8652FF52 00FFFFFF
	s_cmp_lt_u32 s82, s66                                      // 00000000F870: BF0A4252
	s_cselect_b32 s21, s36, s60                                // 00000000F874: 85153C24
	s_mov_b64 exec, s[20:21]                                   // 00000000F878: BEFE0114
	buffer_store_dword v104, v6, s[8:11], 0 offen              // 00000000F87C: E0701000 80026806
	buffer_store_dword v106, v6, s[8:11], 0 offen offset:128   // 00000000F884: E0701080 80026A06
	s_mov_b64 exec, s[36:37]                                   // 00000000F88C: BEFE0124
	v_mov_b32_e32 v6, v75                                      // 00000000F890: 7E0C034B
	s_mov_b64 s[60:61], 0                                      // 00000000F894: BEBC0180
	v_readlane_b32 s82, v3, 26                                 // 00000000F898: D2890052 00013503
	s_and_b32 s82, s82, 0xffffff                               // 00000000F8A0: 8652FF52 00FFFFFF
	s_cmp_lt_u32 s82, s66                                      // 00000000F8A8: BF0A4252
	s_cselect_b32 s20, s36, s60                                // 00000000F8AC: 85143C24
	v_readlane_b32 s82, v3, 27                                 // 00000000F8B0: D2890052 00013703
	s_and_b32 s82, s82, 0xffffff                               // 00000000F8B8: 8652FF52 00FFFFFF
	s_cmp_lt_u32 s82, s66                                      // 00000000F8C0: BF0A4252
	s_cselect_b32 s21, s36, s60                                // 00000000F8C4: 85153C24
	s_mov_b64 exec, s[20:21]                                   // 00000000F8C8: BEFE0114
	buffer_store_dword v105, v6, s[8:11], 0 offen              // 00000000F8CC: E0701000 80026906
	buffer_store_dword v107, v6, s[8:11], 0 offen offset:128   // 00000000F8D4: E0701080 80026B06
	s_mov_b64 exec, s[36:37]                                   // 00000000F8DC: BEFE0124
	v_mov_b32_e32 v6, v76                                      // 00000000F8E0: 7E0C034C
	s_mov_b64 s[60:61], 0                                      // 00000000F8E4: BEBC0180
	v_readlane_b32 s82, v3, 28                                 // 00000000F8E8: D2890052 00013903
	s_and_b32 s82, s82, 0xffffff                               // 00000000F8F0: 8652FF52 00FFFFFF
	s_cmp_lt_u32 s82, s66                                      // 00000000F8F8: BF0A4252
	s_cselect_b32 s20, s36, s60                                // 00000000F8FC: 85143C24
	v_readlane_b32 s82, v3, 29                                 // 00000000F900: D2890052 00013B03
	s_and_b32 s82, s82, 0xffffff                               // 00000000F908: 8652FF52 00FFFFFF
	s_cmp_lt_u32 s82, s66                                      // 00000000F910: BF0A4252
	s_cselect_b32 s21, s36, s60                                // 00000000F914: 85153C24
	s_mov_b64 exec, s[20:21]                                   // 00000000F918: BEFE0114
	buffer_store_dword v108, v6, s[8:11], 0 offen              // 00000000F91C: E0701000 80026C06
	buffer_store_dword v110, v6, s[8:11], 0 offen offset:128   // 00000000F924: E0701080 80026E06
	s_mov_b64 exec, s[36:37]                                   // 00000000F92C: BEFE0124
	v_mov_b32_e32 v6, v77                                      // 00000000F930: 7E0C034D
	s_mov_b64 s[60:61], 0                                      // 00000000F934: BEBC0180
	v_readlane_b32 s82, v3, 30                                 // 00000000F938: D2890052 00013D03
	s_and_b32 s82, s82, 0xffffff                               // 00000000F940: 8652FF52 00FFFFFF
	s_cmp_lt_u32 s82, s66                                      // 00000000F948: BF0A4252
	s_cselect_b32 s20, s36, s60                                // 00000000F94C: 85143C24
	v_readlane_b32 s82, v3, 31                                 // 00000000F950: D2890052 00013F03
	s_and_b32 s82, s82, 0xffffff                               // 00000000F958: 8652FF52 00FFFFFF
	s_cmp_lt_u32 s82, s66                                      // 00000000F960: BF0A4252
	s_cselect_b32 s21, s36, s60                                // 00000000F964: 85153C24
	s_mov_b64 exec, s[20:21]                                   // 00000000F968: BEFE0114
	buffer_store_dword v109, v6, s[8:11], 0 offen              // 00000000F96C: E0701000 80026D06
	buffer_store_dword v111, v6, s[8:11], 0 offen offset:128   // 00000000F974: E0701080 80026F06
	s_mov_b64 exec, s[36:37]                                   // 00000000F97C: BEFE0124
	s_branch label_3BEE                                        // 00000000F980: BF82080A

000000000000f984 <label_33E4>:
	ds_write_b64 v20, v[80:81]                                 // 00000000F984: D89A0000 00005014
	ds_write_b64 v20, v[84:85] offset:4352                     // 00000000F98C: D89A1100 00005414
	ds_write_b64 v20, v[88:89] offset:8704                     // 00000000F994: D89A2200 00005814
	ds_write_b64 v20, v[92:93] offset:13056                    // 00000000F99C: D89A3300 00005C14
	ds_write_b64 v20, v[96:97] offset:17408                    // 00000000F9A4: D89A4400 00006014
	ds_write_b64 v20, v[100:101] offset:21760                  // 00000000F9AC: D89A5500 00006414
	ds_write_b64 v20, v[104:105] offset:26112                  // 00000000F9B4: D89A6600 00006814
	ds_write_b64 v20, v[108:109] offset:30464                  // 00000000F9BC: D89A7700 00006C14
	ds_write_b64 v20, v[112:113] offset:2176                   // 00000000F9C4: D89A0880 00007014
	ds_write_b64 v20, v[116:117] offset:6528                   // 00000000F9CC: D89A1980 00007414
	ds_write_b64 v20, v[120:121] offset:10880                  // 00000000F9D4: D89A2A80 00007814
	ds_write_b64 v20, v[124:125] offset:15232                  // 00000000F9DC: D89A3B80 00007C14
	ds_write_b64 v20, v[128:129] offset:19584                  // 00000000F9E4: D89A4C80 00008014
	ds_write_b64 v20, v[132:133] offset:23936                  // 00000000F9EC: D89A5D80 00008414
	ds_write_b64 v20, v[136:137] offset:28288                  // 00000000F9F4: D89A6E80 00008814
	ds_write_b64 v20, v[140:141] offset:32640                  // 00000000F9FC: D89A7F80 00008C14
	v_lshrrev_b32_e32 v4, 5, v0                                // 00000000FA04: 20080085
	v_xor_b32_e32 v5, 1, v4                                    // 00000000FA08: 2A0A0881
	s_mul_i32 s60, s65, 2                                      // 00000000FA0C: 923C8241
	s_cmp_eq_u32 s88, 0                                        // 00000000FA10: BF068058
	s_cselect_b32 s61, 1, 4                                    // 00000000FA14: 853D8481
	s_mul_i32 s60, s61, s60                                    // 00000000FA18: 923C3C3D
	v_readlane_b32 s82, v3, 0                                  // 00000000FA1C: D2890052 00010103
	s_lshr_b32 s61, s82, 24                                    // 00000000FA24: 8F3D9852
	s_and_b32 s82, s82, 0xffffff                               // 00000000FA28: 8652FF52 00FFFFFF
	s_mul_i32 s82, s82, s71                                    // 00000000FA30: 92524752
	s_mul_i32 s61, s60, s61                                    // 00000000FA34: 923D3D3C
	s_add_u32 s82, s82, s61                                    // 00000000FA38: 80523D52
	v_mul_lo_u32 v6, v5, s82                                   // 00000000FA3C: D2850006 0000A505
	v_readlane_b32 s82, v3, 1                                  // 00000000FA44: D2890052 00010303
	s_lshr_b32 s61, s82, 24                                    // 00000000FA4C: 8F3D9852
	s_and_b32 s82, s82, 0xffffff                               // 00000000FA50: 8652FF52 00FFFFFF
	s_mul_i32 s82, s82, s71                                    // 00000000FA58: 92524752
	s_mul_i32 s61, s60, s61                                    // 00000000FA5C: 923D3D3C
	s_add_u32 s82, s82, s61                                    // 00000000FA60: 80523D52
	v_mul_lo_u32 v7, v4, s82                                   // 00000000FA64: D2850007 0000A504
	v_add_u32_e32 v62, v6, v7                                  // 00000000FA6C: 687C0F06
	v_readlane_b32 s82, v3, 2                                  // 00000000FA70: D2890052 00010503
	s_lshr_b32 s61, s82, 24                                    // 00000000FA78: 8F3D9852
	s_and_b32 s82, s82, 0xffffff                               // 00000000FA7C: 8652FF52 00FFFFFF
	s_mul_i32 s82, s82, s71                                    // 00000000FA84: 92524752
	s_mul_i32 s61, s60, s61                                    // 00000000FA88: 923D3D3C
	s_add_u32 s82, s82, s61                                    // 00000000FA8C: 80523D52
	v_mul_lo_u32 v6, v5, s82                                   // 00000000FA90: D2850006 0000A505
	v_readlane_b32 s82, v3, 3                                  // 00000000FA98: D2890052 00010703
	s_lshr_b32 s61, s82, 24                                    // 00000000FAA0: 8F3D9852
	s_and_b32 s82, s82, 0xffffff                               // 00000000FAA4: 8652FF52 00FFFFFF
	s_mul_i32 s82, s82, s71                                    // 00000000FAAC: 92524752
	s_mul_i32 s61, s60, s61                                    // 00000000FAB0: 923D3D3C
	s_add_u32 s82, s82, s61                                    // 00000000FAB4: 80523D52
	v_mul_lo_u32 v7, v4, s82                                   // 00000000FAB8: D2850007 0000A504
	v_add_u32_e32 v63, v6, v7                                  // 00000000FAC0: 687E0F06
	v_readlane_b32 s82, v3, 4                                  // 00000000FAC4: D2890052 00010903
	s_lshr_b32 s61, s82, 24                                    // 00000000FACC: 8F3D9852
	s_and_b32 s82, s82, 0xffffff                               // 00000000FAD0: 8652FF52 00FFFFFF
	s_mul_i32 s82, s82, s71                                    // 00000000FAD8: 92524752
	s_mul_i32 s61, s60, s61                                    // 00000000FADC: 923D3D3C
	s_add_u32 s82, s82, s61                                    // 00000000FAE0: 80523D52
	v_mul_lo_u32 v6, v5, s82                                   // 00000000FAE4: D2850006 0000A505
	v_readlane_b32 s82, v3, 5                                  // 00000000FAEC: D2890052 00010B03
	s_lshr_b32 s61, s82, 24                                    // 00000000FAF4: 8F3D9852
	s_and_b32 s82, s82, 0xffffff                               // 00000000FAF8: 8652FF52 00FFFFFF
	s_mul_i32 s82, s82, s71                                    // 00000000FB00: 92524752
	s_mul_i32 s61, s60, s61                                    // 00000000FB04: 923D3D3C
	s_add_u32 s82, s82, s61                                    // 00000000FB08: 80523D52
	v_mul_lo_u32 v7, v4, s82                                   // 00000000FB0C: D2850007 0000A504
	v_add_u32_e32 v64, v6, v7                                  // 00000000FB14: 68800F06
	v_readlane_b32 s82, v3, 6                                  // 00000000FB18: D2890052 00010D03
	s_lshr_b32 s61, s82, 24                                    // 00000000FB20: 8F3D9852
	s_and_b32 s82, s82, 0xffffff                               // 00000000FB24: 8652FF52 00FFFFFF
	s_mul_i32 s82, s82, s71                                    // 00000000FB2C: 92524752
	s_mul_i32 s61, s60, s61                                    // 00000000FB30: 923D3D3C
	s_add_u32 s82, s82, s61                                    // 00000000FB34: 80523D52
	v_mul_lo_u32 v6, v5, s82                                   // 00000000FB38: D2850006 0000A505
	v_readlane_b32 s82, v3, 7                                  // 00000000FB40: D2890052 00010F03
	s_lshr_b32 s61, s82, 24                                    // 00000000FB48: 8F3D9852
	s_and_b32 s82, s82, 0xffffff                               // 00000000FB4C: 8652FF52 00FFFFFF
	s_mul_i32 s82, s82, s71                                    // 00000000FB54: 92524752
	s_mul_i32 s61, s60, s61                                    // 00000000FB58: 923D3D3C
	s_add_u32 s82, s82, s61                                    // 00000000FB5C: 80523D52
	v_mul_lo_u32 v7, v4, s82                                   // 00000000FB60: D2850007 0000A504
	v_add_u32_e32 v65, v6, v7                                  // 00000000FB68: 68820F06
	v_readlane_b32 s82, v3, 8                                  // 00000000FB6C: D2890052 00011103
	s_lshr_b32 s61, s82, 24                                    // 00000000FB74: 8F3D9852
	s_and_b32 s82, s82, 0xffffff                               // 00000000FB78: 8652FF52 00FFFFFF
	s_mul_i32 s82, s82, s71                                    // 00000000FB80: 92524752
	s_mul_i32 s61, s60, s61                                    // 00000000FB84: 923D3D3C
	s_add_u32 s82, s82, s61                                    // 00000000FB88: 80523D52
	v_mul_lo_u32 v6, v5, s82                                   // 00000000FB8C: D2850006 0000A505
	v_readlane_b32 s82, v3, 9                                  // 00000000FB94: D2890052 00011303
	s_lshr_b32 s61, s82, 24                                    // 00000000FB9C: 8F3D9852
	s_and_b32 s82, s82, 0xffffff                               // 00000000FBA0: 8652FF52 00FFFFFF
	s_mul_i32 s82, s82, s71                                    // 00000000FBA8: 92524752
	s_mul_i32 s61, s60, s61                                    // 00000000FBAC: 923D3D3C
	s_add_u32 s82, s82, s61                                    // 00000000FBB0: 80523D52
	v_mul_lo_u32 v7, v4, s82                                   // 00000000FBB4: D2850007 0000A504
	v_add_u32_e32 v66, v6, v7                                  // 00000000FBBC: 68840F06
	v_readlane_b32 s82, v3, 10                                 // 00000000FBC0: D2890052 00011503
	s_lshr_b32 s61, s82, 24                                    // 00000000FBC8: 8F3D9852
	s_and_b32 s82, s82, 0xffffff                               // 00000000FBCC: 8652FF52 00FFFFFF
	s_mul_i32 s82, s82, s71                                    // 00000000FBD4: 92524752
	s_mul_i32 s61, s60, s61                                    // 00000000FBD8: 923D3D3C
	s_add_u32 s82, s82, s61                                    // 00000000FBDC: 80523D52
	v_mul_lo_u32 v6, v5, s82                                   // 00000000FBE0: D2850006 0000A505
	v_readlane_b32 s82, v3, 11                                 // 00000000FBE8: D2890052 00011703
	s_lshr_b32 s61, s82, 24                                    // 00000000FBF0: 8F3D9852
	s_and_b32 s82, s82, 0xffffff                               // 00000000FBF4: 8652FF52 00FFFFFF
	s_mul_i32 s82, s82, s71                                    // 00000000FBFC: 92524752
	s_mul_i32 s61, s60, s61                                    // 00000000FC00: 923D3D3C
	s_add_u32 s82, s82, s61                                    // 00000000FC04: 80523D52
	v_mul_lo_u32 v7, v4, s82                                   // 00000000FC08: D2850007 0000A504
	v_add_u32_e32 v67, v6, v7                                  // 00000000FC10: 68860F06
	v_readlane_b32 s82, v3, 12                                 // 00000000FC14: D2890052 00011903
	s_lshr_b32 s61, s82, 24                                    // 00000000FC1C: 8F3D9852
	s_and_b32 s82, s82, 0xffffff                               // 00000000FC20: 8652FF52 00FFFFFF
	s_mul_i32 s82, s82, s71                                    // 00000000FC28: 92524752
	s_mul_i32 s61, s60, s61                                    // 00000000FC2C: 923D3D3C
	s_add_u32 s82, s82, s61                                    // 00000000FC30: 80523D52
	v_mul_lo_u32 v6, v5, s82                                   // 00000000FC34: D2850006 0000A505
	v_readlane_b32 s82, v3, 13                                 // 00000000FC3C: D2890052 00011B03
	s_lshr_b32 s61, s82, 24                                    // 00000000FC44: 8F3D9852
	s_and_b32 s82, s82, 0xffffff                               // 00000000FC48: 8652FF52 00FFFFFF
	s_mul_i32 s82, s82, s71                                    // 00000000FC50: 92524752
	s_mul_i32 s61, s60, s61                                    // 00000000FC54: 923D3D3C
	s_add_u32 s82, s82, s61                                    // 00000000FC58: 80523D52
	v_mul_lo_u32 v7, v4, s82                                   // 00000000FC5C: D2850007 0000A504
	v_add_u32_e32 v68, v6, v7                                  // 00000000FC64: 68880F06
	v_readlane_b32 s82, v3, 14                                 // 00000000FC68: D2890052 00011D03
	s_lshr_b32 s61, s82, 24                                    // 00000000FC70: 8F3D9852
	s_and_b32 s82, s82, 0xffffff                               // 00000000FC74: 8652FF52 00FFFFFF
	s_mul_i32 s82, s82, s71                                    // 00000000FC7C: 92524752
	s_mul_i32 s61, s60, s61                                    // 00000000FC80: 923D3D3C
	s_add_u32 s82, s82, s61                                    // 00000000FC84: 80523D52
	v_mul_lo_u32 v6, v5, s82                                   // 00000000FC88: D2850006 0000A505
	v_readlane_b32 s82, v3, 15                                 // 00000000FC90: D2890052 00011F03
	s_lshr_b32 s61, s82, 24                                    // 00000000FC98: 8F3D9852
	s_and_b32 s82, s82, 0xffffff                               // 00000000FC9C: 8652FF52 00FFFFFF
	s_mul_i32 s82, s82, s71                                    // 00000000FCA4: 92524752
	s_mul_i32 s61, s60, s61                                    // 00000000FCA8: 923D3D3C
	s_add_u32 s82, s82, s61                                    // 00000000FCAC: 80523D52
	v_mul_lo_u32 v7, v4, s82                                   // 00000000FCB0: D2850007 0000A504
	v_add_u32_e32 v69, v6, v7                                  // 00000000FCB8: 688A0F06
	v_readlane_b32 s82, v3, 16                                 // 00000000FCBC: D2890052 00012103
	s_lshr_b32 s61, s82, 24                                    // 00000000FCC4: 8F3D9852
	s_and_b32 s82, s82, 0xffffff                               // 00000000FCC8: 8652FF52 00FFFFFF
	s_mul_i32 s82, s82, s71                                    // 00000000FCD0: 92524752
	s_mul_i32 s61, s60, s61                                    // 00000000FCD4: 923D3D3C
	s_add_u32 s82, s82, s61                                    // 00000000FCD8: 80523D52
	v_mul_lo_u32 v6, v5, s82                                   // 00000000FCDC: D2850006 0000A505
	v_readlane_b32 s82, v3, 17                                 // 00000000FCE4: D2890052 00012303
	s_lshr_b32 s61, s82, 24                                    // 00000000FCEC: 8F3D9852
	s_and_b32 s82, s82, 0xffffff                               // 00000000FCF0: 8652FF52 00FFFFFF
	s_mul_i32 s82, s82, s71                                    // 00000000FCF8: 92524752
	s_mul_i32 s61, s60, s61                                    // 00000000FCFC: 923D3D3C
	s_add_u32 s82, s82, s61                                    // 00000000FD00: 80523D52
	v_mul_lo_u32 v7, v4, s82                                   // 00000000FD04: D2850007 0000A504
	v_add_u32_e32 v70, v6, v7                                  // 00000000FD0C: 688C0F06
	v_readlane_b32 s82, v3, 18                                 // 00000000FD10: D2890052 00012503
	s_lshr_b32 s61, s82, 24                                    // 00000000FD18: 8F3D9852
	s_and_b32 s82, s82, 0xffffff                               // 00000000FD1C: 8652FF52 00FFFFFF
	s_mul_i32 s82, s82, s71                                    // 00000000FD24: 92524752
	s_mul_i32 s61, s60, s61                                    // 00000000FD28: 923D3D3C
	s_add_u32 s82, s82, s61                                    // 00000000FD2C: 80523D52
	v_mul_lo_u32 v6, v5, s82                                   // 00000000FD30: D2850006 0000A505
	v_readlane_b32 s82, v3, 19                                 // 00000000FD38: D2890052 00012703
	s_lshr_b32 s61, s82, 24                                    // 00000000FD40: 8F3D9852
	s_and_b32 s82, s82, 0xffffff                               // 00000000FD44: 8652FF52 00FFFFFF
	s_mul_i32 s82, s82, s71                                    // 00000000FD4C: 92524752
	s_mul_i32 s61, s60, s61                                    // 00000000FD50: 923D3D3C
	s_add_u32 s82, s82, s61                                    // 00000000FD54: 80523D52
	v_mul_lo_u32 v7, v4, s82                                   // 00000000FD58: D2850007 0000A504
	v_add_u32_e32 v71, v6, v7                                  // 00000000FD60: 688E0F06
	v_readlane_b32 s82, v3, 20                                 // 00000000FD64: D2890052 00012903
	s_lshr_b32 s61, s82, 24                                    // 00000000FD6C: 8F3D9852
	s_and_b32 s82, s82, 0xffffff                               // 00000000FD70: 8652FF52 00FFFFFF
	s_mul_i32 s82, s82, s71                                    // 00000000FD78: 92524752
	s_mul_i32 s61, s60, s61                                    // 00000000FD7C: 923D3D3C
	s_add_u32 s82, s82, s61                                    // 00000000FD80: 80523D52
	v_mul_lo_u32 v6, v5, s82                                   // 00000000FD84: D2850006 0000A505
	v_readlane_b32 s82, v3, 21                                 // 00000000FD8C: D2890052 00012B03
	s_lshr_b32 s61, s82, 24                                    // 00000000FD94: 8F3D9852
	s_and_b32 s82, s82, 0xffffff                               // 00000000FD98: 8652FF52 00FFFFFF
	s_mul_i32 s82, s82, s71                                    // 00000000FDA0: 92524752
	s_mul_i32 s61, s60, s61                                    // 00000000FDA4: 923D3D3C
	s_add_u32 s82, s82, s61                                    // 00000000FDA8: 80523D52
	v_mul_lo_u32 v7, v4, s82                                   // 00000000FDAC: D2850007 0000A504
	v_add_u32_e32 v72, v6, v7                                  // 00000000FDB4: 68900F06
	v_readlane_b32 s82, v3, 22                                 // 00000000FDB8: D2890052 00012D03
	s_lshr_b32 s61, s82, 24                                    // 00000000FDC0: 8F3D9852
	s_and_b32 s82, s82, 0xffffff                               // 00000000FDC4: 8652FF52 00FFFFFF
	s_mul_i32 s82, s82, s71                                    // 00000000FDCC: 92524752
	s_mul_i32 s61, s60, s61                                    // 00000000FDD0: 923D3D3C
	s_add_u32 s82, s82, s61                                    // 00000000FDD4: 80523D52
	v_mul_lo_u32 v6, v5, s82                                   // 00000000FDD8: D2850006 0000A505
	v_readlane_b32 s82, v3, 23                                 // 00000000FDE0: D2890052 00012F03
	s_lshr_b32 s61, s82, 24                                    // 00000000FDE8: 8F3D9852
	s_and_b32 s82, s82, 0xffffff                               // 00000000FDEC: 8652FF52 00FFFFFF
	s_mul_i32 s82, s82, s71                                    // 00000000FDF4: 92524752
	s_mul_i32 s61, s60, s61                                    // 00000000FDF8: 923D3D3C
	s_add_u32 s82, s82, s61                                    // 00000000FDFC: 80523D52
	v_mul_lo_u32 v7, v4, s82                                   // 00000000FE00: D2850007 0000A504
	v_add_u32_e32 v73, v6, v7                                  // 00000000FE08: 68920F06
	v_readlane_b32 s82, v3, 24                                 // 00000000FE0C: D2890052 00013103
	s_lshr_b32 s61, s82, 24                                    // 00000000FE14: 8F3D9852
	s_and_b32 s82, s82, 0xffffff                               // 00000000FE18: 8652FF52 00FFFFFF
	s_mul_i32 s82, s82, s71                                    // 00000000FE20: 92524752
	s_mul_i32 s61, s60, s61                                    // 00000000FE24: 923D3D3C
	s_add_u32 s82, s82, s61                                    // 00000000FE28: 80523D52
	v_mul_lo_u32 v6, v5, s82                                   // 00000000FE2C: D2850006 0000A505
	v_readlane_b32 s82, v3, 25                                 // 00000000FE34: D2890052 00013303
	s_lshr_b32 s61, s82, 24                                    // 00000000FE3C: 8F3D9852
	s_and_b32 s82, s82, 0xffffff                               // 00000000FE40: 8652FF52 00FFFFFF
	s_mul_i32 s82, s82, s71                                    // 00000000FE48: 92524752
	s_mul_i32 s61, s60, s61                                    // 00000000FE4C: 923D3D3C
	s_add_u32 s82, s82, s61                                    // 00000000FE50: 80523D52
	v_mul_lo_u32 v7, v4, s82                                   // 00000000FE54: D2850007 0000A504
	v_add_u32_e32 v74, v6, v7                                  // 00000000FE5C: 68940F06
	v_readlane_b32 s82, v3, 26                                 // 00000000FE60: D2890052 00013503
	s_lshr_b32 s61, s82, 24                                    // 00000000FE68: 8F3D9852
	s_and_b32 s82, s82, 0xffffff                               // 00000000FE6C: 8652FF52 00FFFFFF
	s_mul_i32 s82, s82, s71                                    // 00000000FE74: 92524752
	s_mul_i32 s61, s60, s61                                    // 00000000FE78: 923D3D3C
	s_add_u32 s82, s82, s61                                    // 00000000FE7C: 80523D52
	v_mul_lo_u32 v6, v5, s82                                   // 00000000FE80: D2850006 0000A505
	v_readlane_b32 s82, v3, 27                                 // 00000000FE88: D2890052 00013703
	s_lshr_b32 s61, s82, 24                                    // 00000000FE90: 8F3D9852
	s_and_b32 s82, s82, 0xffffff                               // 00000000FE94: 8652FF52 00FFFFFF
	s_mul_i32 s82, s82, s71                                    // 00000000FE9C: 92524752
	s_mul_i32 s61, s60, s61                                    // 00000000FEA0: 923D3D3C
	s_add_u32 s82, s82, s61                                    // 00000000FEA4: 80523D52
	v_mul_lo_u32 v7, v4, s82                                   // 00000000FEA8: D2850007 0000A504
	v_add_u32_e32 v75, v6, v7                                  // 00000000FEB0: 68960F06
	v_readlane_b32 s82, v3, 28                                 // 00000000FEB4: D2890052 00013903
	s_lshr_b32 s61, s82, 24                                    // 00000000FEBC: 8F3D9852
	s_and_b32 s82, s82, 0xffffff                               // 00000000FEC0: 8652FF52 00FFFFFF
	s_mul_i32 s82, s82, s71                                    // 00000000FEC8: 92524752
	s_mul_i32 s61, s60, s61                                    // 00000000FECC: 923D3D3C
	s_add_u32 s82, s82, s61                                    // 00000000FED0: 80523D52
	v_mul_lo_u32 v6, v5, s82                                   // 00000000FED4: D2850006 0000A505
	v_readlane_b32 s82, v3, 29                                 // 00000000FEDC: D2890052 00013B03
	s_lshr_b32 s61, s82, 24                                    // 00000000FEE4: 8F3D9852
	s_and_b32 s82, s82, 0xffffff                               // 00000000FEE8: 8652FF52 00FFFFFF
	s_mul_i32 s82, s82, s71                                    // 00000000FEF0: 92524752
	s_mul_i32 s61, s60, s61                                    // 00000000FEF4: 923D3D3C
	s_add_u32 s82, s82, s61                                    // 00000000FEF8: 80523D52
	v_mul_lo_u32 v7, v4, s82                                   // 00000000FEFC: D2850007 0000A504
	v_add_u32_e32 v76, v6, v7                                  // 00000000FF04: 68980F06
	v_readlane_b32 s82, v3, 30                                 // 00000000FF08: D2890052 00013D03
	s_lshr_b32 s61, s82, 24                                    // 00000000FF10: 8F3D9852
	s_and_b32 s82, s82, 0xffffff                               // 00000000FF14: 8652FF52 00FFFFFF
	s_mul_i32 s82, s82, s71                                    // 00000000FF1C: 92524752
	s_mul_i32 s61, s60, s61                                    // 00000000FF20: 923D3D3C
	s_add_u32 s82, s82, s61                                    // 00000000FF24: 80523D52
	v_mul_lo_u32 v6, v5, s82                                   // 00000000FF28: D2850006 0000A505
	v_readlane_b32 s82, v3, 31                                 // 00000000FF30: D2890052 00013F03
	s_lshr_b32 s61, s82, 24                                    // 00000000FF38: 8F3D9852
	s_and_b32 s82, s82, 0xffffff                               // 00000000FF3C: 8652FF52 00FFFFFF
	s_mul_i32 s82, s82, s71                                    // 00000000FF44: 92524752
	s_mul_i32 s61, s60, s61                                    // 00000000FF48: 923D3D3C
	s_add_u32 s82, s82, s61                                    // 00000000FF4C: 80523D52
	v_mul_lo_u32 v7, v4, s82                                   // 00000000FF50: D2850007 0000A504
	v_add_u32_e32 v77, v6, v7                                  // 00000000FF58: 689A0F06
	v_and_b32_e32 v4, 31, v0                                   // 00000000FF5C: 2608009F
	v_lshrrev_b32_e32 v4, 1, v4                                // 00000000FF60: 20080881
	s_cmp_eq_u32 s88, 0                                        // 00000000FF64: BF068058
	s_cselect_b32 s61, 2, 4                                    // 00000000FF68: 853D8482
	v_mul_lo_u32 v4, v4, s61                                   // 00000000FF6C: D2850004 00007B04
	v_and_b32_e64 v5, v0, 1                                    // 00000000FF74: D1130005 00010300
	v_add_u32_e32 v4, v4, v5                                   // 00000000FF7C: 68080B04
	v_lshlrev_b32_e32 v4, 2, v4                                // 00000000FF80: 24080882
	v_add_u32_e32 v62, v62, v4                                 // 00000000FF84: 687C093E
	v_add_u32_e32 v63, v63, v4                                 // 00000000FF88: 687E093F
	v_add_u32_e32 v64, v64, v4                                 // 00000000FF8C: 68800940
	v_add_u32_e32 v65, v65, v4                                 // 00000000FF90: 68820941
	v_add_u32_e32 v66, v66, v4                                 // 00000000FF94: 68840942
	v_add_u32_e32 v67, v67, v4                                 // 00000000FF98: 68860943
	v_add_u32_e32 v68, v68, v4                                 // 00000000FF9C: 68880944
	v_add_u32_e32 v69, v69, v4                                 // 00000000FFA0: 688A0945
	v_add_u32_e32 v70, v70, v4                                 // 00000000FFA4: 688C0946
	v_add_u32_e32 v71, v71, v4                                 // 00000000FFA8: 688E0947
	v_add_u32_e32 v72, v72, v4                                 // 00000000FFAC: 68900948
	v_add_u32_e32 v73, v73, v4                                 // 00000000FFB0: 68920949
	v_add_u32_e32 v74, v74, v4                                 // 00000000FFB4: 6894094A
	v_add_u32_e32 v75, v75, v4                                 // 00000000FFB8: 6896094B
	v_add_u32_e32 v76, v76, v4                                 // 00000000FFBC: 6898094C
	v_add_u32_e32 v77, v77, v4                                 // 00000000FFC0: 689A094D
	s_waitcnt lgkmcnt(0)                                       // 00000000FFC4: BF8CC07F
	s_barrier                                                  // 00000000FFC8: BF8A0000
	ds_read_b32 v80, v21                                       // 00000000FFCC: D86C0000 50000015
	ds_read_b32 v81, v21 offset:64                             // 00000000FFD4: D86C0040 51000015
	ds_read_b32 v84, v21 offset:2176                           // 00000000FFDC: D86C0880 54000015
	ds_read_b32 v85, v21 offset:2240                           // 00000000FFE4: D86C08C0 55000015
	ds_read_b32 v88, v21 offset:4352                           // 00000000FFEC: D86C1100 58000015
	ds_read_b32 v89, v21 offset:4416                           // 00000000FFF4: D86C1140 59000015
	ds_read_b32 v92, v21 offset:6528                           // 00000000FFFC: D86C1980 5C000015
	ds_read_b32 v93, v21 offset:6592                           // 000000010004: D86C19C0 5D000015
	ds_read_b32 v96, v21 offset:8704                           // 00000001000C: D86C2200 60000015
	ds_read_b32 v97, v21 offset:8768                           // 000000010014: D86C2240 61000015
	ds_read_b32 v100, v21 offset:10880                         // 00000001001C: D86C2A80 64000015
	ds_read_b32 v101, v21 offset:10944                         // 000000010024: D86C2AC0 65000015
	ds_read_b32 v104, v21 offset:13056                         // 00000001002C: D86C3300 68000015
	ds_read_b32 v105, v21 offset:13120                         // 000000010034: D86C3340 69000015
	ds_read_b32 v108, v21 offset:15232                         // 00000001003C: D86C3B80 6C000015
	ds_read_b32 v109, v21 offset:15296                         // 000000010044: D86C3BC0 6D000015
	ds_read_b32 v112, v21 offset:17408                         // 00000001004C: D86C4400 70000015
	ds_read_b32 v113, v21 offset:17472                         // 000000010054: D86C4440 71000015
	ds_read_b32 v116, v21 offset:19584                         // 00000001005C: D86C4C80 74000015
	ds_read_b32 v117, v21 offset:19648                         // 000000010064: D86C4CC0 75000015
	ds_read_b32 v120, v21 offset:21760                         // 00000001006C: D86C5500 78000015
	ds_read_b32 v121, v21 offset:21824                         // 000000010074: D86C5540 79000015
	ds_read_b32 v124, v21 offset:23936                         // 00000001007C: D86C5D80 7C000015
	ds_read_b32 v125, v21 offset:24000                         // 000000010084: D86C5DC0 7D000015
	ds_read_b32 v128, v21 offset:26112                         // 00000001008C: D86C6600 80000015
	ds_read_b32 v129, v21 offset:26176                         // 000000010094: D86C6640 81000015
	ds_read_b32 v132, v21 offset:28288                         // 00000001009C: D86C6E80 84000015
	ds_read_b32 v133, v21 offset:28352                         // 0000000100A4: D86C6EC0 85000015
	ds_read_b32 v136, v21 offset:30464                         // 0000000100AC: D86C7700 88000015
	ds_read_b32 v137, v21 offset:30528                         // 0000000100B4: D86C7740 89000015
	ds_read_b32 v140, v21 offset:32640                         // 0000000100BC: D86C7F80 8C000015
	ds_read_b32 v141, v21 offset:32704                         // 0000000100C4: D86C7FC0 8D000015
	s_waitcnt lgkmcnt(0)                                       // 0000000100CC: BF8CC07F
	s_mov_b32 s36, -1                                          // 0000000100D0: BEA400C1
	s_mov_b32 s37, -1                                          // 0000000100D4: BEA500C1
	v_mov_b32_e32 v7, 0                                        // 0000000100D8: 7E0E0280
	s_mov_b64 exec, s[36:37]                                   // 0000000100DC: BEFE0124
	v_mov_b32_e32 v6, v62                                      // 0000000100E0: 7E0C033E
	s_mov_b64 s[60:61], 0                                      // 0000000100E4: BEBC0180
	v_readlane_b32 s82, v3, 0                                  // 0000000100E8: D2890052 00010103
	s_and_b32 s82, s82, 0xffffff                               // 0000000100F0: 8652FF52 00FFFFFF
	s_cmp_lt_u32 s82, s66                                      // 0000000100F8: BF0A4252
	s_cselect_b32 s20, s36, s60                                // 0000000100FC: 85143C24
	v_readlane_b32 s82, v3, 1                                  // 000000010100: D2890052 00010303
	s_and_b32 s82, s82, 0xffffff                               // 000000010108: 8652FF52 00FFFFFF
	s_cmp_lt_u32 s82, s66                                      // 000000010110: BF0A4252
	s_cselect_b32 s21, s36, s60                                // 000000010114: 85153C24
	s_mov_b64 exec, s[20:21]                                   // 000000010118: BEFE0114
	global_atomic_add_f32 v6, v80, s[8:9]                      // 00000001011C: DD348000 00085006
	global_atomic_add_f32 v6, v84, s[8:9] offset:256           // 000000010124: DD348100 00085406
	s_mov_b64 exec, s[36:37]                                   // 00000001012C: BEFE0124
	v_mov_b32_e32 v6, v63                                      // 000000010130: 7E0C033F
	s_mov_b64 s[60:61], 0                                      // 000000010134: BEBC0180
	v_readlane_b32 s82, v3, 2                                  // 000000010138: D2890052 00010503
	s_and_b32 s82, s82, 0xffffff                               // 000000010140: 8652FF52 00FFFFFF
	s_cmp_lt_u32 s82, s66                                      // 000000010148: BF0A4252
	s_cselect_b32 s20, s36, s60                                // 00000001014C: 85143C24
	v_readlane_b32 s82, v3, 3                                  // 000000010150: D2890052 00010703
	s_and_b32 s82, s82, 0xffffff                               // 000000010158: 8652FF52 00FFFFFF
	s_cmp_lt_u32 s82, s66                                      // 000000010160: BF0A4252
	s_cselect_b32 s21, s36, s60                                // 000000010164: 85153C24
	s_mov_b64 exec, s[20:21]                                   // 000000010168: BEFE0114
	global_atomic_add_f32 v6, v81, s[8:9]                      // 00000001016C: DD348000 00085106
	global_atomic_add_f32 v6, v85, s[8:9] offset:256           // 000000010174: DD348100 00085506
	s_mov_b64 exec, s[36:37]                                   // 00000001017C: BEFE0124
	v_mov_b32_e32 v6, v64                                      // 000000010180: 7E0C0340
	s_mov_b64 s[60:61], 0                                      // 000000010184: BEBC0180
	v_readlane_b32 s82, v3, 4                                  // 000000010188: D2890052 00010903
	s_and_b32 s82, s82, 0xffffff                               // 000000010190: 8652FF52 00FFFFFF
	s_cmp_lt_u32 s82, s66                                      // 000000010198: BF0A4252
	s_cselect_b32 s20, s36, s60                                // 00000001019C: 85143C24
	v_readlane_b32 s82, v3, 5                                  // 0000000101A0: D2890052 00010B03
	s_and_b32 s82, s82, 0xffffff                               // 0000000101A8: 8652FF52 00FFFFFF
	s_cmp_lt_u32 s82, s66                                      // 0000000101B0: BF0A4252
	s_cselect_b32 s21, s36, s60                                // 0000000101B4: 85153C24
	s_mov_b64 exec, s[20:21]                                   // 0000000101B8: BEFE0114
	global_atomic_add_f32 v6, v88, s[8:9]                      // 0000000101BC: DD348000 00085806
	global_atomic_add_f32 v6, v92, s[8:9] offset:256           // 0000000101C4: DD348100 00085C06
	s_mov_b64 exec, s[36:37]                                   // 0000000101CC: BEFE0124
	v_mov_b32_e32 v6, v65                                      // 0000000101D0: 7E0C0341
	s_mov_b64 s[60:61], 0                                      // 0000000101D4: BEBC0180
	v_readlane_b32 s82, v3, 6                                  // 0000000101D8: D2890052 00010D03
	s_and_b32 s82, s82, 0xffffff                               // 0000000101E0: 8652FF52 00FFFFFF
	s_cmp_lt_u32 s82, s66                                      // 0000000101E8: BF0A4252
	s_cselect_b32 s20, s36, s60                                // 0000000101EC: 85143C24
	v_readlane_b32 s82, v3, 7                                  // 0000000101F0: D2890052 00010F03
	s_and_b32 s82, s82, 0xffffff                               // 0000000101F8: 8652FF52 00FFFFFF
	s_cmp_lt_u32 s82, s66                                      // 000000010200: BF0A4252
	s_cselect_b32 s21, s36, s60                                // 000000010204: 85153C24
	s_mov_b64 exec, s[20:21]                                   // 000000010208: BEFE0114
	global_atomic_add_f32 v6, v89, s[8:9]                      // 00000001020C: DD348000 00085906
	global_atomic_add_f32 v6, v93, s[8:9] offset:256           // 000000010214: DD348100 00085D06
	s_mov_b64 exec, s[36:37]                                   // 00000001021C: BEFE0124
	v_mov_b32_e32 v6, v66                                      // 000000010220: 7E0C0342
	s_mov_b64 s[60:61], 0                                      // 000000010224: BEBC0180
	v_readlane_b32 s82, v3, 8                                  // 000000010228: D2890052 00011103
	s_and_b32 s82, s82, 0xffffff                               // 000000010230: 8652FF52 00FFFFFF
	s_cmp_lt_u32 s82, s66                                      // 000000010238: BF0A4252
	s_cselect_b32 s20, s36, s60                                // 00000001023C: 85143C24
	v_readlane_b32 s82, v3, 9                                  // 000000010240: D2890052 00011303
	s_and_b32 s82, s82, 0xffffff                               // 000000010248: 8652FF52 00FFFFFF
	s_cmp_lt_u32 s82, s66                                      // 000000010250: BF0A4252
	s_cselect_b32 s21, s36, s60                                // 000000010254: 85153C24
	s_mov_b64 exec, s[20:21]                                   // 000000010258: BEFE0114
	global_atomic_add_f32 v6, v96, s[8:9]                      // 00000001025C: DD348000 00086006
	global_atomic_add_f32 v6, v100, s[8:9] offset:256          // 000000010264: DD348100 00086406
	s_mov_b64 exec, s[36:37]                                   // 00000001026C: BEFE0124
	v_mov_b32_e32 v6, v67                                      // 000000010270: 7E0C0343
	s_mov_b64 s[60:61], 0                                      // 000000010274: BEBC0180
	v_readlane_b32 s82, v3, 10                                 // 000000010278: D2890052 00011503
	s_and_b32 s82, s82, 0xffffff                               // 000000010280: 8652FF52 00FFFFFF
	s_cmp_lt_u32 s82, s66                                      // 000000010288: BF0A4252
	s_cselect_b32 s20, s36, s60                                // 00000001028C: 85143C24
	v_readlane_b32 s82, v3, 11                                 // 000000010290: D2890052 00011703
	s_and_b32 s82, s82, 0xffffff                               // 000000010298: 8652FF52 00FFFFFF
	s_cmp_lt_u32 s82, s66                                      // 0000000102A0: BF0A4252
	s_cselect_b32 s21, s36, s60                                // 0000000102A4: 85153C24
	s_mov_b64 exec, s[20:21]                                   // 0000000102A8: BEFE0114
	global_atomic_add_f32 v6, v97, s[8:9]                      // 0000000102AC: DD348000 00086106
	global_atomic_add_f32 v6, v101, s[8:9] offset:256          // 0000000102B4: DD348100 00086506
	s_mov_b64 exec, s[36:37]                                   // 0000000102BC: BEFE0124
	v_mov_b32_e32 v6, v68                                      // 0000000102C0: 7E0C0344
	s_mov_b64 s[60:61], 0                                      // 0000000102C4: BEBC0180
	v_readlane_b32 s82, v3, 12                                 // 0000000102C8: D2890052 00011903
	s_and_b32 s82, s82, 0xffffff                               // 0000000102D0: 8652FF52 00FFFFFF
	s_cmp_lt_u32 s82, s66                                      // 0000000102D8: BF0A4252
	s_cselect_b32 s20, s36, s60                                // 0000000102DC: 85143C24
	v_readlane_b32 s82, v3, 13                                 // 0000000102E0: D2890052 00011B03
	s_and_b32 s82, s82, 0xffffff                               // 0000000102E8: 8652FF52 00FFFFFF
	s_cmp_lt_u32 s82, s66                                      // 0000000102F0: BF0A4252
	s_cselect_b32 s21, s36, s60                                // 0000000102F4: 85153C24
	s_mov_b64 exec, s[20:21]                                   // 0000000102F8: BEFE0114
	global_atomic_add_f32 v6, v104, s[8:9]                     // 0000000102FC: DD348000 00086806
	global_atomic_add_f32 v6, v108, s[8:9] offset:256          // 000000010304: DD348100 00086C06
	s_mov_b64 exec, s[36:37]                                   // 00000001030C: BEFE0124
	v_mov_b32_e32 v6, v69                                      // 000000010310: 7E0C0345
	s_mov_b64 s[60:61], 0                                      // 000000010314: BEBC0180
	v_readlane_b32 s82, v3, 14                                 // 000000010318: D2890052 00011D03
	s_and_b32 s82, s82, 0xffffff                               // 000000010320: 8652FF52 00FFFFFF
	s_cmp_lt_u32 s82, s66                                      // 000000010328: BF0A4252
	s_cselect_b32 s20, s36, s60                                // 00000001032C: 85143C24
	v_readlane_b32 s82, v3, 15                                 // 000000010330: D2890052 00011F03
	s_and_b32 s82, s82, 0xffffff                               // 000000010338: 8652FF52 00FFFFFF
	s_cmp_lt_u32 s82, s66                                      // 000000010340: BF0A4252
	s_cselect_b32 s21, s36, s60                                // 000000010344: 85153C24
	s_mov_b64 exec, s[20:21]                                   // 000000010348: BEFE0114
	global_atomic_add_f32 v6, v105, s[8:9]                     // 00000001034C: DD348000 00086906
	global_atomic_add_f32 v6, v109, s[8:9] offset:256          // 000000010354: DD348100 00086D06
	s_mov_b64 exec, s[36:37]                                   // 00000001035C: BEFE0124
	v_mov_b32_e32 v6, v70                                      // 000000010360: 7E0C0346
	s_mov_b64 s[60:61], 0                                      // 000000010364: BEBC0180
	v_readlane_b32 s82, v3, 16                                 // 000000010368: D2890052 00012103
	s_and_b32 s82, s82, 0xffffff                               // 000000010370: 8652FF52 00FFFFFF
	s_cmp_lt_u32 s82, s66                                      // 000000010378: BF0A4252
	s_cselect_b32 s20, s36, s60                                // 00000001037C: 85143C24
	v_readlane_b32 s82, v3, 17                                 // 000000010380: D2890052 00012303
	s_and_b32 s82, s82, 0xffffff                               // 000000010388: 8652FF52 00FFFFFF
	s_cmp_lt_u32 s82, s66                                      // 000000010390: BF0A4252
	s_cselect_b32 s21, s36, s60                                // 000000010394: 85153C24
	s_mov_b64 exec, s[20:21]                                   // 000000010398: BEFE0114
	global_atomic_add_f32 v6, v112, s[8:9]                     // 00000001039C: DD348000 00087006
	global_atomic_add_f32 v6, v116, s[8:9] offset:256          // 0000000103A4: DD348100 00087406
	s_mov_b64 exec, s[36:37]                                   // 0000000103AC: BEFE0124
	v_mov_b32_e32 v6, v71                                      // 0000000103B0: 7E0C0347
	s_mov_b64 s[60:61], 0                                      // 0000000103B4: BEBC0180
	v_readlane_b32 s82, v3, 18                                 // 0000000103B8: D2890052 00012503
	s_and_b32 s82, s82, 0xffffff                               // 0000000103C0: 8652FF52 00FFFFFF
	s_cmp_lt_u32 s82, s66                                      // 0000000103C8: BF0A4252
	s_cselect_b32 s20, s36, s60                                // 0000000103CC: 85143C24
	v_readlane_b32 s82, v3, 19                                 // 0000000103D0: D2890052 00012703
	s_and_b32 s82, s82, 0xffffff                               // 0000000103D8: 8652FF52 00FFFFFF
	s_cmp_lt_u32 s82, s66                                      // 0000000103E0: BF0A4252
	s_cselect_b32 s21, s36, s60                                // 0000000103E4: 85153C24
	s_mov_b64 exec, s[20:21]                                   // 0000000103E8: BEFE0114
	global_atomic_add_f32 v6, v113, s[8:9]                     // 0000000103EC: DD348000 00087106
	global_atomic_add_f32 v6, v117, s[8:9] offset:256          // 0000000103F4: DD348100 00087506
	s_mov_b64 exec, s[36:37]                                   // 0000000103FC: BEFE0124
	v_mov_b32_e32 v6, v72                                      // 000000010400: 7E0C0348
	s_mov_b64 s[60:61], 0                                      // 000000010404: BEBC0180
	v_readlane_b32 s82, v3, 20                                 // 000000010408: D2890052 00012903
	s_and_b32 s82, s82, 0xffffff                               // 000000010410: 8652FF52 00FFFFFF
	s_cmp_lt_u32 s82, s66                                      // 000000010418: BF0A4252
	s_cselect_b32 s20, s36, s60                                // 00000001041C: 85143C24
	v_readlane_b32 s82, v3, 21                                 // 000000010420: D2890052 00012B03
	s_and_b32 s82, s82, 0xffffff                               // 000000010428: 8652FF52 00FFFFFF
	s_cmp_lt_u32 s82, s66                                      // 000000010430: BF0A4252
	s_cselect_b32 s21, s36, s60                                // 000000010434: 85153C24
	s_mov_b64 exec, s[20:21]                                   // 000000010438: BEFE0114
	global_atomic_add_f32 v6, v120, s[8:9]                     // 00000001043C: DD348000 00087806
	global_atomic_add_f32 v6, v124, s[8:9] offset:256          // 000000010444: DD348100 00087C06
	s_mov_b64 exec, s[36:37]                                   // 00000001044C: BEFE0124
	v_mov_b32_e32 v6, v73                                      // 000000010450: 7E0C0349
	s_mov_b64 s[60:61], 0                                      // 000000010454: BEBC0180
	v_readlane_b32 s82, v3, 22                                 // 000000010458: D2890052 00012D03
	s_and_b32 s82, s82, 0xffffff                               // 000000010460: 8652FF52 00FFFFFF
	s_cmp_lt_u32 s82, s66                                      // 000000010468: BF0A4252
	s_cselect_b32 s20, s36, s60                                // 00000001046C: 85143C24
	v_readlane_b32 s82, v3, 23                                 // 000000010470: D2890052 00012F03
	s_and_b32 s82, s82, 0xffffff                               // 000000010478: 8652FF52 00FFFFFF
	s_cmp_lt_u32 s82, s66                                      // 000000010480: BF0A4252
	s_cselect_b32 s21, s36, s60                                // 000000010484: 85153C24
	s_mov_b64 exec, s[20:21]                                   // 000000010488: BEFE0114
	global_atomic_add_f32 v6, v121, s[8:9]                     // 00000001048C: DD348000 00087906
	global_atomic_add_f32 v6, v125, s[8:9] offset:256          // 000000010494: DD348100 00087D06
	s_mov_b64 exec, s[36:37]                                   // 00000001049C: BEFE0124
	v_mov_b32_e32 v6, v74                                      // 0000000104A0: 7E0C034A
	s_mov_b64 s[60:61], 0                                      // 0000000104A4: BEBC0180
	v_readlane_b32 s82, v3, 24                                 // 0000000104A8: D2890052 00013103
	s_and_b32 s82, s82, 0xffffff                               // 0000000104B0: 8652FF52 00FFFFFF
	s_cmp_lt_u32 s82, s66                                      // 0000000104B8: BF0A4252
	s_cselect_b32 s20, s36, s60                                // 0000000104BC: 85143C24
	v_readlane_b32 s82, v3, 25                                 // 0000000104C0: D2890052 00013303
	s_and_b32 s82, s82, 0xffffff                               // 0000000104C8: 8652FF52 00FFFFFF
	s_cmp_lt_u32 s82, s66                                      // 0000000104D0: BF0A4252
	s_cselect_b32 s21, s36, s60                                // 0000000104D4: 85153C24
	s_mov_b64 exec, s[20:21]                                   // 0000000104D8: BEFE0114
	global_atomic_add_f32 v6, v128, s[8:9]                     // 0000000104DC: DD348000 00088006
	global_atomic_add_f32 v6, v132, s[8:9] offset:256          // 0000000104E4: DD348100 00088406
	s_mov_b64 exec, s[36:37]                                   // 0000000104EC: BEFE0124
	v_mov_b32_e32 v6, v75                                      // 0000000104F0: 7E0C034B
	s_mov_b64 s[60:61], 0                                      // 0000000104F4: BEBC0180
	v_readlane_b32 s82, v3, 26                                 // 0000000104F8: D2890052 00013503
	s_and_b32 s82, s82, 0xffffff                               // 000000010500: 8652FF52 00FFFFFF
	s_cmp_lt_u32 s82, s66                                      // 000000010508: BF0A4252
	s_cselect_b32 s20, s36, s60                                // 00000001050C: 85143C24
	v_readlane_b32 s82, v3, 27                                 // 000000010510: D2890052 00013703
	s_and_b32 s82, s82, 0xffffff                               // 000000010518: 8652FF52 00FFFFFF
	s_cmp_lt_u32 s82, s66                                      // 000000010520: BF0A4252
	s_cselect_b32 s21, s36, s60                                // 000000010524: 85153C24
	s_mov_b64 exec, s[20:21]                                   // 000000010528: BEFE0114
	global_atomic_add_f32 v6, v129, s[8:9]                     // 00000001052C: DD348000 00088106
	global_atomic_add_f32 v6, v133, s[8:9] offset:256          // 000000010534: DD348100 00088506
	s_mov_b64 exec, s[36:37]                                   // 00000001053C: BEFE0124
	v_mov_b32_e32 v6, v76                                      // 000000010540: 7E0C034C
	s_mov_b64 s[60:61], 0                                      // 000000010544: BEBC0180
	v_readlane_b32 s82, v3, 28                                 // 000000010548: D2890052 00013903
	s_and_b32 s82, s82, 0xffffff                               // 000000010550: 8652FF52 00FFFFFF
	s_cmp_lt_u32 s82, s66                                      // 000000010558: BF0A4252
	s_cselect_b32 s20, s36, s60                                // 00000001055C: 85143C24
	v_readlane_b32 s82, v3, 29                                 // 000000010560: D2890052 00013B03
	s_and_b32 s82, s82, 0xffffff                               // 000000010568: 8652FF52 00FFFFFF
	s_cmp_lt_u32 s82, s66                                      // 000000010570: BF0A4252
	s_cselect_b32 s21, s36, s60                                // 000000010574: 85153C24
	s_mov_b64 exec, s[20:21]                                   // 000000010578: BEFE0114
	global_atomic_add_f32 v6, v136, s[8:9]                     // 00000001057C: DD348000 00088806
	global_atomic_add_f32 v6, v140, s[8:9] offset:256          // 000000010584: DD348100 00088C06
	s_mov_b64 exec, s[36:37]                                   // 00000001058C: BEFE0124
	v_mov_b32_e32 v6, v77                                      // 000000010590: 7E0C034D
	s_mov_b64 s[60:61], 0                                      // 000000010594: BEBC0180
	v_readlane_b32 s82, v3, 30                                 // 000000010598: D2890052 00013D03
	s_and_b32 s82, s82, 0xffffff                               // 0000000105A0: 8652FF52 00FFFFFF
	s_cmp_lt_u32 s82, s66                                      // 0000000105A8: BF0A4252
	s_cselect_b32 s20, s36, s60                                // 0000000105AC: 85143C24
	v_readlane_b32 s82, v3, 31                                 // 0000000105B0: D2890052 00013F03
	s_and_b32 s82, s82, 0xffffff                               // 0000000105B8: 8652FF52 00FFFFFF
	s_cmp_lt_u32 s82, s66                                      // 0000000105C0: BF0A4252
	s_cselect_b32 s21, s36, s60                                // 0000000105C4: 85153C24
	s_mov_b64 exec, s[20:21]                                   // 0000000105C8: BEFE0114
	global_atomic_add_f32 v6, v137, s[8:9]                     // 0000000105CC: DD348000 00088906
	global_atomic_add_f32 v6, v141, s[8:9] offset:256          // 0000000105D4: DD348100 00088D06
	s_mov_b64 exec, s[36:37]                                   // 0000000105DC: BEFE0124
	ds_write_b64 v20, v[82:83]                                 // 0000000105E0: D89A0000 00005214
	ds_write_b64 v20, v[86:87] offset:4352                     // 0000000105E8: D89A1100 00005614
	ds_write_b64 v20, v[90:91] offset:8704                     // 0000000105F0: D89A2200 00005A14
	ds_write_b64 v20, v[94:95] offset:13056                    // 0000000105F8: D89A3300 00005E14
	ds_write_b64 v20, v[98:99] offset:17408                    // 000000010600: D89A4400 00006214
	ds_write_b64 v20, v[102:103] offset:21760                  // 000000010608: D89A5500 00006614
	ds_write_b64 v20, v[106:107] offset:26112                  // 000000010610: D89A6600 00006A14
	ds_write_b64 v20, v[110:111] offset:30464                  // 000000010618: D89A7700 00006E14
	ds_write_b64 v20, v[114:115] offset:2176                   // 000000010620: D89A0880 00007214
	ds_write_b64 v20, v[118:119] offset:6528                   // 000000010628: D89A1980 00007614
	ds_write_b64 v20, v[122:123] offset:10880                  // 000000010630: D89A2A80 00007A14
	ds_write_b64 v20, v[126:127] offset:15232                  // 000000010638: D89A3B80 00007E14
	ds_write_b64 v20, v[130:131] offset:19584                  // 000000010640: D89A4C80 00008214
	ds_write_b64 v20, v[134:135] offset:23936                  // 000000010648: D89A5D80 00008614
	ds_write_b64 v20, v[138:139] offset:28288                  // 000000010650: D89A6E80 00008A14
	ds_write_b64 v20, v[142:143] offset:32640                  // 000000010658: D89A7F80 00008E14
	s_waitcnt lgkmcnt(0)                                       // 000000010660: BF8CC07F
	s_barrier                                                  // 000000010664: BF8A0000
	ds_read_b32 v82, v21                                       // 000000010668: D86C0000 52000015
	ds_read_b32 v83, v21 offset:64                             // 000000010670: D86C0040 53000015
	ds_read_b32 v86, v21 offset:2176                           // 000000010678: D86C0880 56000015
	ds_read_b32 v87, v21 offset:2240                           // 000000010680: D86C08C0 57000015
	ds_read_b32 v90, v21 offset:4352                           // 000000010688: D86C1100 5A000015
	ds_read_b32 v91, v21 offset:4416                           // 000000010690: D86C1140 5B000015
	ds_read_b32 v94, v21 offset:6528                           // 000000010698: D86C1980 5E000015
	ds_read_b32 v95, v21 offset:6592                           // 0000000106A0: D86C19C0 5F000015
	ds_read_b32 v98, v21 offset:8704                           // 0000000106A8: D86C2200 62000015
	ds_read_b32 v99, v21 offset:8768                           // 0000000106B0: D86C2240 63000015
	ds_read_b32 v102, v21 offset:10880                         // 0000000106B8: D86C2A80 66000015
	ds_read_b32 v103, v21 offset:10944                         // 0000000106C0: D86C2AC0 67000015
	ds_read_b32 v106, v21 offset:13056                         // 0000000106C8: D86C3300 6A000015
	ds_read_b32 v107, v21 offset:13120                         // 0000000106D0: D86C3340 6B000015
	ds_read_b32 v110, v21 offset:15232                         // 0000000106D8: D86C3B80 6E000015
	ds_read_b32 v111, v21 offset:15296                         // 0000000106E0: D86C3BC0 6F000015
	ds_read_b32 v114, v21 offset:17408                         // 0000000106E8: D86C4400 72000015
	ds_read_b32 v115, v21 offset:17472                         // 0000000106F0: D86C4440 73000015
	ds_read_b32 v118, v21 offset:19584                         // 0000000106F8: D86C4C80 76000015
	ds_read_b32 v119, v21 offset:19648                         // 000000010700: D86C4CC0 77000015
	ds_read_b32 v122, v21 offset:21760                         // 000000010708: D86C5500 7A000015
	ds_read_b32 v123, v21 offset:21824                         // 000000010710: D86C5540 7B000015
	ds_read_b32 v126, v21 offset:23936                         // 000000010718: D86C5D80 7E000015
	ds_read_b32 v127, v21 offset:24000                         // 000000010720: D86C5DC0 7F000015
	ds_read_b32 v130, v21 offset:26112                         // 000000010728: D86C6600 82000015
	ds_read_b32 v131, v21 offset:26176                         // 000000010730: D86C6640 83000015
	ds_read_b32 v134, v21 offset:28288                         // 000000010738: D86C6E80 86000015
	ds_read_b32 v135, v21 offset:28352                         // 000000010740: D86C6EC0 87000015
	ds_read_b32 v138, v21 offset:30464                         // 000000010748: D86C7700 8A000015
	ds_read_b32 v139, v21 offset:30528                         // 000000010750: D86C7740 8B000015
	ds_read_b32 v142, v21 offset:32640                         // 000000010758: D86C7F80 8E000015
	ds_read_b32 v143, v21 offset:32704                         // 000000010760: D86C7FC0 8F000015
	s_waitcnt lgkmcnt(0)                                       // 000000010768: BF8CC07F
	v_mov_b32_e32 v7, 0                                        // 00000001076C: 7E0E0280
	s_mov_b64 exec, s[36:37]                                   // 000000010770: BEFE0124
	v_mov_b32_e32 v6, v62                                      // 000000010774: 7E0C033E
	s_mov_b64 s[60:61], 0                                      // 000000010778: BEBC0180
	v_readlane_b32 s82, v3, 0                                  // 00000001077C: D2890052 00010103
	s_and_b32 s82, s82, 0xffffff                               // 000000010784: 8652FF52 00FFFFFF
	s_cmp_lt_u32 s82, s66                                      // 00000001078C: BF0A4252
	s_cselect_b32 s20, s36, s60                                // 000000010790: 85143C24
	v_readlane_b32 s82, v3, 1                                  // 000000010794: D2890052 00010303
	s_and_b32 s82, s82, 0xffffff                               // 00000001079C: 8652FF52 00FFFFFF
	s_cmp_lt_u32 s82, s66                                      // 0000000107A4: BF0A4252
	s_cselect_b32 s21, s36, s60                                // 0000000107A8: 85153C24
	s_mov_b64 exec, s[20:21]                                   // 0000000107AC: BEFE0114
	global_atomic_add_f32 v6, v82, s[8:9] offset:8             // 0000000107B0: DD348008 00085206
	global_atomic_add_f32 v6, v86, s[8:9] offset:264           // 0000000107B8: DD348108 00085606
	s_mov_b64 exec, s[36:37]                                   // 0000000107C0: BEFE0124
	v_mov_b32_e32 v6, v63                                      // 0000000107C4: 7E0C033F
	s_mov_b64 s[60:61], 0                                      // 0000000107C8: BEBC0180
	v_readlane_b32 s82, v3, 2                                  // 0000000107CC: D2890052 00010503
	s_and_b32 s82, s82, 0xffffff                               // 0000000107D4: 8652FF52 00FFFFFF
	s_cmp_lt_u32 s82, s66                                      // 0000000107DC: BF0A4252
	s_cselect_b32 s20, s36, s60                                // 0000000107E0: 85143C24
	v_readlane_b32 s82, v3, 3                                  // 0000000107E4: D2890052 00010703
	s_and_b32 s82, s82, 0xffffff                               // 0000000107EC: 8652FF52 00FFFFFF
	s_cmp_lt_u32 s82, s66                                      // 0000000107F4: BF0A4252
	s_cselect_b32 s21, s36, s60                                // 0000000107F8: 85153C24
	s_mov_b64 exec, s[20:21]                                   // 0000000107FC: BEFE0114
	global_atomic_add_f32 v6, v83, s[8:9] offset:8             // 000000010800: DD348008 00085306
	global_atomic_add_f32 v6, v87, s[8:9] offset:264           // 000000010808: DD348108 00085706
	s_mov_b64 exec, s[36:37]                                   // 000000010810: BEFE0124
	v_mov_b32_e32 v6, v64                                      // 000000010814: 7E0C0340
	s_mov_b64 s[60:61], 0                                      // 000000010818: BEBC0180
	v_readlane_b32 s82, v3, 4                                  // 00000001081C: D2890052 00010903
	s_and_b32 s82, s82, 0xffffff                               // 000000010824: 8652FF52 00FFFFFF
	s_cmp_lt_u32 s82, s66                                      // 00000001082C: BF0A4252
	s_cselect_b32 s20, s36, s60                                // 000000010830: 85143C24
	v_readlane_b32 s82, v3, 5                                  // 000000010834: D2890052 00010B03
	s_and_b32 s82, s82, 0xffffff                               // 00000001083C: 8652FF52 00FFFFFF
	s_cmp_lt_u32 s82, s66                                      // 000000010844: BF0A4252
	s_cselect_b32 s21, s36, s60                                // 000000010848: 85153C24
	s_mov_b64 exec, s[20:21]                                   // 00000001084C: BEFE0114
	global_atomic_add_f32 v6, v90, s[8:9] offset:8             // 000000010850: DD348008 00085A06
	global_atomic_add_f32 v6, v94, s[8:9] offset:264           // 000000010858: DD348108 00085E06
	s_mov_b64 exec, s[36:37]                                   // 000000010860: BEFE0124
	v_mov_b32_e32 v6, v65                                      // 000000010864: 7E0C0341
	s_mov_b64 s[60:61], 0                                      // 000000010868: BEBC0180
	v_readlane_b32 s82, v3, 6                                  // 00000001086C: D2890052 00010D03
	s_and_b32 s82, s82, 0xffffff                               // 000000010874: 8652FF52 00FFFFFF
	s_cmp_lt_u32 s82, s66                                      // 00000001087C: BF0A4252
	s_cselect_b32 s20, s36, s60                                // 000000010880: 85143C24
	v_readlane_b32 s82, v3, 7                                  // 000000010884: D2890052 00010F03
	s_and_b32 s82, s82, 0xffffff                               // 00000001088C: 8652FF52 00FFFFFF
	s_cmp_lt_u32 s82, s66                                      // 000000010894: BF0A4252
	s_cselect_b32 s21, s36, s60                                // 000000010898: 85153C24
	s_mov_b64 exec, s[20:21]                                   // 00000001089C: BEFE0114
	global_atomic_add_f32 v6, v91, s[8:9] offset:8             // 0000000108A0: DD348008 00085B06
	global_atomic_add_f32 v6, v95, s[8:9] offset:264           // 0000000108A8: DD348108 00085F06
	s_mov_b64 exec, s[36:37]                                   // 0000000108B0: BEFE0124
	v_mov_b32_e32 v6, v66                                      // 0000000108B4: 7E0C0342
	s_mov_b64 s[60:61], 0                                      // 0000000108B8: BEBC0180
	v_readlane_b32 s82, v3, 8                                  // 0000000108BC: D2890052 00011103
	s_and_b32 s82, s82, 0xffffff                               // 0000000108C4: 8652FF52 00FFFFFF
	s_cmp_lt_u32 s82, s66                                      // 0000000108CC: BF0A4252
	s_cselect_b32 s20, s36, s60                                // 0000000108D0: 85143C24
	v_readlane_b32 s82, v3, 9                                  // 0000000108D4: D2890052 00011303
	s_and_b32 s82, s82, 0xffffff                               // 0000000108DC: 8652FF52 00FFFFFF
	s_cmp_lt_u32 s82, s66                                      // 0000000108E4: BF0A4252
	s_cselect_b32 s21, s36, s60                                // 0000000108E8: 85153C24
	s_mov_b64 exec, s[20:21]                                   // 0000000108EC: BEFE0114
	global_atomic_add_f32 v6, v98, s[8:9] offset:8             // 0000000108F0: DD348008 00086206
	global_atomic_add_f32 v6, v102, s[8:9] offset:264          // 0000000108F8: DD348108 00086606
	s_mov_b64 exec, s[36:37]                                   // 000000010900: BEFE0124
	v_mov_b32_e32 v6, v67                                      // 000000010904: 7E0C0343
	s_mov_b64 s[60:61], 0                                      // 000000010908: BEBC0180
	v_readlane_b32 s82, v3, 10                                 // 00000001090C: D2890052 00011503
	s_and_b32 s82, s82, 0xffffff                               // 000000010914: 8652FF52 00FFFFFF
	s_cmp_lt_u32 s82, s66                                      // 00000001091C: BF0A4252
	s_cselect_b32 s20, s36, s60                                // 000000010920: 85143C24
	v_readlane_b32 s82, v3, 11                                 // 000000010924: D2890052 00011703
	s_and_b32 s82, s82, 0xffffff                               // 00000001092C: 8652FF52 00FFFFFF
	s_cmp_lt_u32 s82, s66                                      // 000000010934: BF0A4252
	s_cselect_b32 s21, s36, s60                                // 000000010938: 85153C24
	s_mov_b64 exec, s[20:21]                                   // 00000001093C: BEFE0114
	global_atomic_add_f32 v6, v99, s[8:9] offset:8             // 000000010940: DD348008 00086306
	global_atomic_add_f32 v6, v103, s[8:9] offset:264          // 000000010948: DD348108 00086706
	s_mov_b64 exec, s[36:37]                                   // 000000010950: BEFE0124
	v_mov_b32_e32 v6, v68                                      // 000000010954: 7E0C0344
	s_mov_b64 s[60:61], 0                                      // 000000010958: BEBC0180
	v_readlane_b32 s82, v3, 12                                 // 00000001095C: D2890052 00011903
	s_and_b32 s82, s82, 0xffffff                               // 000000010964: 8652FF52 00FFFFFF
	s_cmp_lt_u32 s82, s66                                      // 00000001096C: BF0A4252
	s_cselect_b32 s20, s36, s60                                // 000000010970: 85143C24
	v_readlane_b32 s82, v3, 13                                 // 000000010974: D2890052 00011B03
	s_and_b32 s82, s82, 0xffffff                               // 00000001097C: 8652FF52 00FFFFFF
	s_cmp_lt_u32 s82, s66                                      // 000000010984: BF0A4252
	s_cselect_b32 s21, s36, s60                                // 000000010988: 85153C24
	s_mov_b64 exec, s[20:21]                                   // 00000001098C: BEFE0114
	global_atomic_add_f32 v6, v106, s[8:9] offset:8            // 000000010990: DD348008 00086A06
	global_atomic_add_f32 v6, v110, s[8:9] offset:264          // 000000010998: DD348108 00086E06
	s_mov_b64 exec, s[36:37]                                   // 0000000109A0: BEFE0124
	v_mov_b32_e32 v6, v69                                      // 0000000109A4: 7E0C0345
	s_mov_b64 s[60:61], 0                                      // 0000000109A8: BEBC0180
	v_readlane_b32 s82, v3, 14                                 // 0000000109AC: D2890052 00011D03
	s_and_b32 s82, s82, 0xffffff                               // 0000000109B4: 8652FF52 00FFFFFF
	s_cmp_lt_u32 s82, s66                                      // 0000000109BC: BF0A4252
	s_cselect_b32 s20, s36, s60                                // 0000000109C0: 85143C24
	v_readlane_b32 s82, v3, 15                                 // 0000000109C4: D2890052 00011F03
	s_and_b32 s82, s82, 0xffffff                               // 0000000109CC: 8652FF52 00FFFFFF
	s_cmp_lt_u32 s82, s66                                      // 0000000109D4: BF0A4252
	s_cselect_b32 s21, s36, s60                                // 0000000109D8: 85153C24
	s_mov_b64 exec, s[20:21]                                   // 0000000109DC: BEFE0114
	global_atomic_add_f32 v6, v107, s[8:9] offset:8            // 0000000109E0: DD348008 00086B06
	global_atomic_add_f32 v6, v111, s[8:9] offset:264          // 0000000109E8: DD348108 00086F06
	s_mov_b64 exec, s[36:37]                                   // 0000000109F0: BEFE0124
	v_mov_b32_e32 v6, v70                                      // 0000000109F4: 7E0C0346
	s_mov_b64 s[60:61], 0                                      // 0000000109F8: BEBC0180
	v_readlane_b32 s82, v3, 16                                 // 0000000109FC: D2890052 00012103
	s_and_b32 s82, s82, 0xffffff                               // 000000010A04: 8652FF52 00FFFFFF
	s_cmp_lt_u32 s82, s66                                      // 000000010A0C: BF0A4252
	s_cselect_b32 s20, s36, s60                                // 000000010A10: 85143C24
	v_readlane_b32 s82, v3, 17                                 // 000000010A14: D2890052 00012303
	s_and_b32 s82, s82, 0xffffff                               // 000000010A1C: 8652FF52 00FFFFFF
	s_cmp_lt_u32 s82, s66                                      // 000000010A24: BF0A4252
	s_cselect_b32 s21, s36, s60                                // 000000010A28: 85153C24
	s_mov_b64 exec, s[20:21]                                   // 000000010A2C: BEFE0114
	global_atomic_add_f32 v6, v114, s[8:9] offset:8            // 000000010A30: DD348008 00087206
	global_atomic_add_f32 v6, v118, s[8:9] offset:264          // 000000010A38: DD348108 00087606
	s_mov_b64 exec, s[36:37]                                   // 000000010A40: BEFE0124
	v_mov_b32_e32 v6, v71                                      // 000000010A44: 7E0C0347
	s_mov_b64 s[60:61], 0                                      // 000000010A48: BEBC0180
	v_readlane_b32 s82, v3, 18                                 // 000000010A4C: D2890052 00012503
	s_and_b32 s82, s82, 0xffffff                               // 000000010A54: 8652FF52 00FFFFFF
	s_cmp_lt_u32 s82, s66                                      // 000000010A5C: BF0A4252
	s_cselect_b32 s20, s36, s60                                // 000000010A60: 85143C24
	v_readlane_b32 s82, v3, 19                                 // 000000010A64: D2890052 00012703
	s_and_b32 s82, s82, 0xffffff                               // 000000010A6C: 8652FF52 00FFFFFF
	s_cmp_lt_u32 s82, s66                                      // 000000010A74: BF0A4252
	s_cselect_b32 s21, s36, s60                                // 000000010A78: 85153C24
	s_mov_b64 exec, s[20:21]                                   // 000000010A7C: BEFE0114
	global_atomic_add_f32 v6, v115, s[8:9] offset:8            // 000000010A80: DD348008 00087306
	global_atomic_add_f32 v6, v119, s[8:9] offset:264          // 000000010A88: DD348108 00087706
	s_mov_b64 exec, s[36:37]                                   // 000000010A90: BEFE0124
	v_mov_b32_e32 v6, v72                                      // 000000010A94: 7E0C0348
	s_mov_b64 s[60:61], 0                                      // 000000010A98: BEBC0180
	v_readlane_b32 s82, v3, 20                                 // 000000010A9C: D2890052 00012903
	s_and_b32 s82, s82, 0xffffff                               // 000000010AA4: 8652FF52 00FFFFFF
	s_cmp_lt_u32 s82, s66                                      // 000000010AAC: BF0A4252
	s_cselect_b32 s20, s36, s60                                // 000000010AB0: 85143C24
	v_readlane_b32 s82, v3, 21                                 // 000000010AB4: D2890052 00012B03
	s_and_b32 s82, s82, 0xffffff                               // 000000010ABC: 8652FF52 00FFFFFF
	s_cmp_lt_u32 s82, s66                                      // 000000010AC4: BF0A4252
	s_cselect_b32 s21, s36, s60                                // 000000010AC8: 85153C24
	s_mov_b64 exec, s[20:21]                                   // 000000010ACC: BEFE0114
	global_atomic_add_f32 v6, v122, s[8:9] offset:8            // 000000010AD0: DD348008 00087A06
	global_atomic_add_f32 v6, v126, s[8:9] offset:264          // 000000010AD8: DD348108 00087E06
	s_mov_b64 exec, s[36:37]                                   // 000000010AE0: BEFE0124
	v_mov_b32_e32 v6, v73                                      // 000000010AE4: 7E0C0349
	s_mov_b64 s[60:61], 0                                      // 000000010AE8: BEBC0180
	v_readlane_b32 s82, v3, 22                                 // 000000010AEC: D2890052 00012D03
	s_and_b32 s82, s82, 0xffffff                               // 000000010AF4: 8652FF52 00FFFFFF
	s_cmp_lt_u32 s82, s66                                      // 000000010AFC: BF0A4252
	s_cselect_b32 s20, s36, s60                                // 000000010B00: 85143C24
	v_readlane_b32 s82, v3, 23                                 // 000000010B04: D2890052 00012F03
	s_and_b32 s82, s82, 0xffffff                               // 000000010B0C: 8652FF52 00FFFFFF
	s_cmp_lt_u32 s82, s66                                      // 000000010B14: BF0A4252
	s_cselect_b32 s21, s36, s60                                // 000000010B18: 85153C24
	s_mov_b64 exec, s[20:21]                                   // 000000010B1C: BEFE0114
	global_atomic_add_f32 v6, v123, s[8:9] offset:8            // 000000010B20: DD348008 00087B06
	global_atomic_add_f32 v6, v127, s[8:9] offset:264          // 000000010B28: DD348108 00087F06
	s_mov_b64 exec, s[36:37]                                   // 000000010B30: BEFE0124
	v_mov_b32_e32 v6, v74                                      // 000000010B34: 7E0C034A
	s_mov_b64 s[60:61], 0                                      // 000000010B38: BEBC0180
	v_readlane_b32 s82, v3, 24                                 // 000000010B3C: D2890052 00013103
	s_and_b32 s82, s82, 0xffffff                               // 000000010B44: 8652FF52 00FFFFFF
	s_cmp_lt_u32 s82, s66                                      // 000000010B4C: BF0A4252
	s_cselect_b32 s20, s36, s60                                // 000000010B50: 85143C24
	v_readlane_b32 s82, v3, 25                                 // 000000010B54: D2890052 00013303
	s_and_b32 s82, s82, 0xffffff                               // 000000010B5C: 8652FF52 00FFFFFF
	s_cmp_lt_u32 s82, s66                                      // 000000010B64: BF0A4252
	s_cselect_b32 s21, s36, s60                                // 000000010B68: 85153C24
	s_mov_b64 exec, s[20:21]                                   // 000000010B6C: BEFE0114
	global_atomic_add_f32 v6, v130, s[8:9] offset:8            // 000000010B70: DD348008 00088206
	global_atomic_add_f32 v6, v134, s[8:9] offset:264          // 000000010B78: DD348108 00088606
	s_mov_b64 exec, s[36:37]                                   // 000000010B80: BEFE0124
	v_mov_b32_e32 v6, v75                                      // 000000010B84: 7E0C034B
	s_mov_b64 s[60:61], 0                                      // 000000010B88: BEBC0180
	v_readlane_b32 s82, v3, 26                                 // 000000010B8C: D2890052 00013503
	s_and_b32 s82, s82, 0xffffff                               // 000000010B94: 8652FF52 00FFFFFF
	s_cmp_lt_u32 s82, s66                                      // 000000010B9C: BF0A4252
	s_cselect_b32 s20, s36, s60                                // 000000010BA0: 85143C24
	v_readlane_b32 s82, v3, 27                                 // 000000010BA4: D2890052 00013703
	s_and_b32 s82, s82, 0xffffff                               // 000000010BAC: 8652FF52 00FFFFFF
	s_cmp_lt_u32 s82, s66                                      // 000000010BB4: BF0A4252
	s_cselect_b32 s21, s36, s60                                // 000000010BB8: 85153C24
	s_mov_b64 exec, s[20:21]                                   // 000000010BBC: BEFE0114
	global_atomic_add_f32 v6, v131, s[8:9] offset:8            // 000000010BC0: DD348008 00088306
	global_atomic_add_f32 v6, v135, s[8:9] offset:264          // 000000010BC8: DD348108 00088706
	s_mov_b64 exec, s[36:37]                                   // 000000010BD0: BEFE0124
	v_mov_b32_e32 v6, v76                                      // 000000010BD4: 7E0C034C
	s_mov_b64 s[60:61], 0                                      // 000000010BD8: BEBC0180
	v_readlane_b32 s82, v3, 28                                 // 000000010BDC: D2890052 00013903
	s_and_b32 s82, s82, 0xffffff                               // 000000010BE4: 8652FF52 00FFFFFF
	s_cmp_lt_u32 s82, s66                                      // 000000010BEC: BF0A4252
	s_cselect_b32 s20, s36, s60                                // 000000010BF0: 85143C24
	v_readlane_b32 s82, v3, 29                                 // 000000010BF4: D2890052 00013B03
	s_and_b32 s82, s82, 0xffffff                               // 000000010BFC: 8652FF52 00FFFFFF
	s_cmp_lt_u32 s82, s66                                      // 000000010C04: BF0A4252
	s_cselect_b32 s21, s36, s60                                // 000000010C08: 85153C24
	s_mov_b64 exec, s[20:21]                                   // 000000010C0C: BEFE0114
	global_atomic_add_f32 v6, v138, s[8:9] offset:8            // 000000010C10: DD348008 00088A06
	global_atomic_add_f32 v6, v142, s[8:9] offset:264          // 000000010C18: DD348108 00088E06
	s_mov_b64 exec, s[36:37]                                   // 000000010C20: BEFE0124
	v_mov_b32_e32 v6, v77                                      // 000000010C24: 7E0C034D
	s_mov_b64 s[60:61], 0                                      // 000000010C28: BEBC0180
	v_readlane_b32 s82, v3, 30                                 // 000000010C2C: D2890052 00013D03
	s_and_b32 s82, s82, 0xffffff                               // 000000010C34: 8652FF52 00FFFFFF
	s_cmp_lt_u32 s82, s66                                      // 000000010C3C: BF0A4252
	s_cselect_b32 s20, s36, s60                                // 000000010C40: 85143C24
	v_readlane_b32 s82, v3, 31                                 // 000000010C44: D2890052 00013F03
	s_and_b32 s82, s82, 0xffffff                               // 000000010C4C: 8652FF52 00FFFFFF
	s_cmp_lt_u32 s82, s66                                      // 000000010C54: BF0A4252
	s_cselect_b32 s21, s36, s60                                // 000000010C58: 85153C24
	s_mov_b64 exec, s[20:21]                                   // 000000010C5C: BEFE0114
	global_atomic_add_f32 v6, v139, s[8:9] offset:8            // 000000010C60: DD348008 00088B06
	global_atomic_add_f32 v6, v143, s[8:9] offset:264          // 000000010C68: DD348108 00088F06
	s_mov_b64 exec, s[36:37]                                   // 000000010C70: BEFE0124
	ds_write_b64 v20, v[144:145]                               // 000000010C74: D89A0000 00009014
	ds_write_b64 v20, v[148:149] offset:4352                   // 000000010C7C: D89A1100 00009414
	ds_write_b64 v20, v[152:153] offset:8704                   // 000000010C84: D89A2200 00009814
	ds_write_b64 v20, v[156:157] offset:13056                  // 000000010C8C: D89A3300 00009C14
	ds_write_b64 v20, v[160:161] offset:17408                  // 000000010C94: D89A4400 0000A014
	ds_write_b64 v20, v[164:165] offset:21760                  // 000000010C9C: D89A5500 0000A414
	ds_write_b64 v20, v[168:169] offset:26112                  // 000000010CA4: D89A6600 0000A814
	ds_write_b64 v20, v[172:173] offset:30464                  // 000000010CAC: D89A7700 0000AC14
	ds_write_b64 v20, v[176:177] offset:2176                   // 000000010CB4: D89A0880 0000B014
	ds_write_b64 v20, v[180:181] offset:6528                   // 000000010CBC: D89A1980 0000B414
	ds_write_b64 v20, v[184:185] offset:10880                  // 000000010CC4: D89A2A80 0000B814
	ds_write_b64 v20, v[188:189] offset:15232                  // 000000010CCC: D89A3B80 0000BC14
	ds_write_b64 v20, v[192:193] offset:19584                  // 000000010CD4: D89A4C80 0000C014
	ds_write_b64 v20, v[196:197] offset:23936                  // 000000010CDC: D89A5D80 0000C414
	ds_write_b64 v20, v[200:201] offset:28288                  // 000000010CE4: D89A6E80 0000C814
	ds_write_b64 v20, v[204:205] offset:32640                  // 000000010CEC: D89A7F80 0000CC14
	s_waitcnt lgkmcnt(0)                                       // 000000010CF4: BF8CC07F
	s_barrier                                                  // 000000010CF8: BF8A0000
	ds_read_b32 v144, v21                                      // 000000010CFC: D86C0000 90000015
	ds_read_b32 v145, v21 offset:64                            // 000000010D04: D86C0040 91000015
	ds_read_b32 v148, v21 offset:2176                          // 000000010D0C: D86C0880 94000015
	ds_read_b32 v149, v21 offset:2240                          // 000000010D14: D86C08C0 95000015
	ds_read_b32 v152, v21 offset:4352                          // 000000010D1C: D86C1100 98000015
	ds_read_b32 v153, v21 offset:4416                          // 000000010D24: D86C1140 99000015
	ds_read_b32 v156, v21 offset:6528                          // 000000010D2C: D86C1980 9C000015
	ds_read_b32 v157, v21 offset:6592                          // 000000010D34: D86C19C0 9D000015
	ds_read_b32 v160, v21 offset:8704                          // 000000010D3C: D86C2200 A0000015
	ds_read_b32 v161, v21 offset:8768                          // 000000010D44: D86C2240 A1000015
	ds_read_b32 v164, v21 offset:10880                         // 000000010D4C: D86C2A80 A4000015
	ds_read_b32 v165, v21 offset:10944                         // 000000010D54: D86C2AC0 A5000015
	ds_read_b32 v168, v21 offset:13056                         // 000000010D5C: D86C3300 A8000015
	ds_read_b32 v169, v21 offset:13120                         // 000000010D64: D86C3340 A9000015
	ds_read_b32 v172, v21 offset:15232                         // 000000010D6C: D86C3B80 AC000015
	ds_read_b32 v173, v21 offset:15296                         // 000000010D74: D86C3BC0 AD000015
	ds_read_b32 v176, v21 offset:17408                         // 000000010D7C: D86C4400 B0000015
	ds_read_b32 v177, v21 offset:17472                         // 000000010D84: D86C4440 B1000015
	ds_read_b32 v180, v21 offset:19584                         // 000000010D8C: D86C4C80 B4000015
	ds_read_b32 v181, v21 offset:19648                         // 000000010D94: D86C4CC0 B5000015
	ds_read_b32 v184, v21 offset:21760                         // 000000010D9C: D86C5500 B8000015
	ds_read_b32 v185, v21 offset:21824                         // 000000010DA4: D86C5540 B9000015
	ds_read_b32 v188, v21 offset:23936                         // 000000010DAC: D86C5D80 BC000015
	ds_read_b32 v189, v21 offset:24000                         // 000000010DB4: D86C5DC0 BD000015
	ds_read_b32 v192, v21 offset:26112                         // 000000010DBC: D86C6600 C0000015
	ds_read_b32 v193, v21 offset:26176                         // 000000010DC4: D86C6640 C1000015
	ds_read_b32 v196, v21 offset:28288                         // 000000010DCC: D86C6E80 C4000015
	ds_read_b32 v197, v21 offset:28352                         // 000000010DD4: D86C6EC0 C5000015
	ds_read_b32 v200, v21 offset:30464                         // 000000010DDC: D86C7700 C8000015
	ds_read_b32 v201, v21 offset:30528                         // 000000010DE4: D86C7740 C9000015
	ds_read_b32 v204, v21 offset:32640                         // 000000010DEC: D86C7F80 CC000015
	ds_read_b32 v205, v21 offset:32704                         // 000000010DF4: D86C7FC0 CD000015
	s_mul_i32 s60, s65, 4                                      // 000000010DFC: 923C8441
	s_add_u32 s8, s60, s8                                      // 000000010E00: 8008083C
	s_addc_u32 s9, 0, s9                                       // 000000010E04: 82090980
	s_waitcnt lgkmcnt(0)                                       // 000000010E08: BF8CC07F
	v_mov_b32_e32 v7, 0                                        // 000000010E0C: 7E0E0280
	s_mov_b64 exec, s[36:37]                                   // 000000010E10: BEFE0124
	v_mov_b32_e32 v6, v62                                      // 000000010E14: 7E0C033E
	s_mov_b64 s[60:61], 0                                      // 000000010E18: BEBC0180
	v_readlane_b32 s82, v3, 0                                  // 000000010E1C: D2890052 00010103
	s_and_b32 s82, s82, 0xffffff                               // 000000010E24: 8652FF52 00FFFFFF
	s_cmp_lt_u32 s82, s66                                      // 000000010E2C: BF0A4252
	s_cselect_b32 s20, s36, s60                                // 000000010E30: 85143C24
	v_readlane_b32 s82, v3, 1                                  // 000000010E34: D2890052 00010303
	s_and_b32 s82, s82, 0xffffff                               // 000000010E3C: 8652FF52 00FFFFFF
	s_cmp_lt_u32 s82, s66                                      // 000000010E44: BF0A4252
	s_cselect_b32 s21, s36, s60                                // 000000010E48: 85153C24
	s_mov_b64 exec, s[20:21]                                   // 000000010E4C: BEFE0114
	global_atomic_add_f32 v6, v144, s[8:9]                     // 000000010E50: DD348000 00089006
	global_atomic_add_f32 v6, v148, s[8:9] offset:256          // 000000010E58: DD348100 00089406
	s_mov_b64 exec, s[36:37]                                   // 000000010E60: BEFE0124
	v_mov_b32_e32 v6, v63                                      // 000000010E64: 7E0C033F
	s_mov_b64 s[60:61], 0                                      // 000000010E68: BEBC0180
	v_readlane_b32 s82, v3, 2                                  // 000000010E6C: D2890052 00010503
	s_and_b32 s82, s82, 0xffffff                               // 000000010E74: 8652FF52 00FFFFFF
	s_cmp_lt_u32 s82, s66                                      // 000000010E7C: BF0A4252
	s_cselect_b32 s20, s36, s60                                // 000000010E80: 85143C24
	v_readlane_b32 s82, v3, 3                                  // 000000010E84: D2890052 00010703
	s_and_b32 s82, s82, 0xffffff                               // 000000010E8C: 8652FF52 00FFFFFF
	s_cmp_lt_u32 s82, s66                                      // 000000010E94: BF0A4252
	s_cselect_b32 s21, s36, s60                                // 000000010E98: 85153C24
	s_mov_b64 exec, s[20:21]                                   // 000000010E9C: BEFE0114
	global_atomic_add_f32 v6, v145, s[8:9]                     // 000000010EA0: DD348000 00089106
	global_atomic_add_f32 v6, v149, s[8:9] offset:256          // 000000010EA8: DD348100 00089506
	s_mov_b64 exec, s[36:37]                                   // 000000010EB0: BEFE0124
	v_mov_b32_e32 v6, v64                                      // 000000010EB4: 7E0C0340
	s_mov_b64 s[60:61], 0                                      // 000000010EB8: BEBC0180
	v_readlane_b32 s82, v3, 4                                  // 000000010EBC: D2890052 00010903
	s_and_b32 s82, s82, 0xffffff                               // 000000010EC4: 8652FF52 00FFFFFF
	s_cmp_lt_u32 s82, s66                                      // 000000010ECC: BF0A4252
	s_cselect_b32 s20, s36, s60                                // 000000010ED0: 85143C24
	v_readlane_b32 s82, v3, 5                                  // 000000010ED4: D2890052 00010B03
	s_and_b32 s82, s82, 0xffffff                               // 000000010EDC: 8652FF52 00FFFFFF
	s_cmp_lt_u32 s82, s66                                      // 000000010EE4: BF0A4252
	s_cselect_b32 s21, s36, s60                                // 000000010EE8: 85153C24
	s_mov_b64 exec, s[20:21]                                   // 000000010EEC: BEFE0114
	global_atomic_add_f32 v6, v152, s[8:9]                     // 000000010EF0: DD348000 00089806
	global_atomic_add_f32 v6, v156, s[8:9] offset:256          // 000000010EF8: DD348100 00089C06
	s_mov_b64 exec, s[36:37]                                   // 000000010F00: BEFE0124
	v_mov_b32_e32 v6, v65                                      // 000000010F04: 7E0C0341
	s_mov_b64 s[60:61], 0                                      // 000000010F08: BEBC0180
	v_readlane_b32 s82, v3, 6                                  // 000000010F0C: D2890052 00010D03
	s_and_b32 s82, s82, 0xffffff                               // 000000010F14: 8652FF52 00FFFFFF
	s_cmp_lt_u32 s82, s66                                      // 000000010F1C: BF0A4252
	s_cselect_b32 s20, s36, s60                                // 000000010F20: 85143C24
	v_readlane_b32 s82, v3, 7                                  // 000000010F24: D2890052 00010F03
	s_and_b32 s82, s82, 0xffffff                               // 000000010F2C: 8652FF52 00FFFFFF
	s_cmp_lt_u32 s82, s66                                      // 000000010F34: BF0A4252
	s_cselect_b32 s21, s36, s60                                // 000000010F38: 85153C24
	s_mov_b64 exec, s[20:21]                                   // 000000010F3C: BEFE0114
	global_atomic_add_f32 v6, v153, s[8:9]                     // 000000010F40: DD348000 00089906
	global_atomic_add_f32 v6, v157, s[8:9] offset:256          // 000000010F48: DD348100 00089D06
	s_mov_b64 exec, s[36:37]                                   // 000000010F50: BEFE0124
	v_mov_b32_e32 v6, v66                                      // 000000010F54: 7E0C0342
	s_mov_b64 s[60:61], 0                                      // 000000010F58: BEBC0180
	v_readlane_b32 s82, v3, 8                                  // 000000010F5C: D2890052 00011103
	s_and_b32 s82, s82, 0xffffff                               // 000000010F64: 8652FF52 00FFFFFF
	s_cmp_lt_u32 s82, s66                                      // 000000010F6C: BF0A4252
	s_cselect_b32 s20, s36, s60                                // 000000010F70: 85143C24
	v_readlane_b32 s82, v3, 9                                  // 000000010F74: D2890052 00011303
	s_and_b32 s82, s82, 0xffffff                               // 000000010F7C: 8652FF52 00FFFFFF
	s_cmp_lt_u32 s82, s66                                      // 000000010F84: BF0A4252
	s_cselect_b32 s21, s36, s60                                // 000000010F88: 85153C24
	s_mov_b64 exec, s[20:21]                                   // 000000010F8C: BEFE0114
	global_atomic_add_f32 v6, v160, s[8:9]                     // 000000010F90: DD348000 0008A006
	global_atomic_add_f32 v6, v164, s[8:9] offset:256          // 000000010F98: DD348100 0008A406
	s_mov_b64 exec, s[36:37]                                   // 000000010FA0: BEFE0124
	v_mov_b32_e32 v6, v67                                      // 000000010FA4: 7E0C0343
	s_mov_b64 s[60:61], 0                                      // 000000010FA8: BEBC0180
	v_readlane_b32 s82, v3, 10                                 // 000000010FAC: D2890052 00011503
	s_and_b32 s82, s82, 0xffffff                               // 000000010FB4: 8652FF52 00FFFFFF
	s_cmp_lt_u32 s82, s66                                      // 000000010FBC: BF0A4252
	s_cselect_b32 s20, s36, s60                                // 000000010FC0: 85143C24
	v_readlane_b32 s82, v3, 11                                 // 000000010FC4: D2890052 00011703
	s_and_b32 s82, s82, 0xffffff                               // 000000010FCC: 8652FF52 00FFFFFF
	s_cmp_lt_u32 s82, s66                                      // 000000010FD4: BF0A4252
	s_cselect_b32 s21, s36, s60                                // 000000010FD8: 85153C24
	s_mov_b64 exec, s[20:21]                                   // 000000010FDC: BEFE0114
	global_atomic_add_f32 v6, v161, s[8:9]                     // 000000010FE0: DD348000 0008A106
	global_atomic_add_f32 v6, v165, s[8:9] offset:256          // 000000010FE8: DD348100 0008A506
	s_mov_b64 exec, s[36:37]                                   // 000000010FF0: BEFE0124
	v_mov_b32_e32 v6, v68                                      // 000000010FF4: 7E0C0344
	s_mov_b64 s[60:61], 0                                      // 000000010FF8: BEBC0180
	v_readlane_b32 s82, v3, 12                                 // 000000010FFC: D2890052 00011903
	s_and_b32 s82, s82, 0xffffff                               // 000000011004: 8652FF52 00FFFFFF
	s_cmp_lt_u32 s82, s66                                      // 00000001100C: BF0A4252
	s_cselect_b32 s20, s36, s60                                // 000000011010: 85143C24
	v_readlane_b32 s82, v3, 13                                 // 000000011014: D2890052 00011B03
	s_and_b32 s82, s82, 0xffffff                               // 00000001101C: 8652FF52 00FFFFFF
	s_cmp_lt_u32 s82, s66                                      // 000000011024: BF0A4252
	s_cselect_b32 s21, s36, s60                                // 000000011028: 85153C24
	s_mov_b64 exec, s[20:21]                                   // 00000001102C: BEFE0114
	global_atomic_add_f32 v6, v168, s[8:9]                     // 000000011030: DD348000 0008A806
	global_atomic_add_f32 v6, v172, s[8:9] offset:256          // 000000011038: DD348100 0008AC06
	s_mov_b64 exec, s[36:37]                                   // 000000011040: BEFE0124
	v_mov_b32_e32 v6, v69                                      // 000000011044: 7E0C0345
	s_mov_b64 s[60:61], 0                                      // 000000011048: BEBC0180
	v_readlane_b32 s82, v3, 14                                 // 00000001104C: D2890052 00011D03
	s_and_b32 s82, s82, 0xffffff                               // 000000011054: 8652FF52 00FFFFFF
	s_cmp_lt_u32 s82, s66                                      // 00000001105C: BF0A4252
	s_cselect_b32 s20, s36, s60                                // 000000011060: 85143C24
	v_readlane_b32 s82, v3, 15                                 // 000000011064: D2890052 00011F03
	s_and_b32 s82, s82, 0xffffff                               // 00000001106C: 8652FF52 00FFFFFF
	s_cmp_lt_u32 s82, s66                                      // 000000011074: BF0A4252
	s_cselect_b32 s21, s36, s60                                // 000000011078: 85153C24
	s_mov_b64 exec, s[20:21]                                   // 00000001107C: BEFE0114
	global_atomic_add_f32 v6, v169, s[8:9]                     // 000000011080: DD348000 0008A906
	global_atomic_add_f32 v6, v173, s[8:9] offset:256          // 000000011088: DD348100 0008AD06
	s_mov_b64 exec, s[36:37]                                   // 000000011090: BEFE0124
	v_mov_b32_e32 v6, v70                                      // 000000011094: 7E0C0346
	s_mov_b64 s[60:61], 0                                      // 000000011098: BEBC0180
	v_readlane_b32 s82, v3, 16                                 // 00000001109C: D2890052 00012103
	s_and_b32 s82, s82, 0xffffff                               // 0000000110A4: 8652FF52 00FFFFFF
	s_cmp_lt_u32 s82, s66                                      // 0000000110AC: BF0A4252
	s_cselect_b32 s20, s36, s60                                // 0000000110B0: 85143C24
	v_readlane_b32 s82, v3, 17                                 // 0000000110B4: D2890052 00012303
	s_and_b32 s82, s82, 0xffffff                               // 0000000110BC: 8652FF52 00FFFFFF
	s_cmp_lt_u32 s82, s66                                      // 0000000110C4: BF0A4252
	s_cselect_b32 s21, s36, s60                                // 0000000110C8: 85153C24
	s_mov_b64 exec, s[20:21]                                   // 0000000110CC: BEFE0114
	global_atomic_add_f32 v6, v176, s[8:9]                     // 0000000110D0: DD348000 0008B006
	global_atomic_add_f32 v6, v180, s[8:9] offset:256          // 0000000110D8: DD348100 0008B406
	s_mov_b64 exec, s[36:37]                                   // 0000000110E0: BEFE0124
	v_mov_b32_e32 v6, v71                                      // 0000000110E4: 7E0C0347
	s_mov_b64 s[60:61], 0                                      // 0000000110E8: BEBC0180
	v_readlane_b32 s82, v3, 18                                 // 0000000110EC: D2890052 00012503
	s_and_b32 s82, s82, 0xffffff                               // 0000000110F4: 8652FF52 00FFFFFF
	s_cmp_lt_u32 s82, s66                                      // 0000000110FC: BF0A4252
	s_cselect_b32 s20, s36, s60                                // 000000011100: 85143C24
	v_readlane_b32 s82, v3, 19                                 // 000000011104: D2890052 00012703
	s_and_b32 s82, s82, 0xffffff                               // 00000001110C: 8652FF52 00FFFFFF
	s_cmp_lt_u32 s82, s66                                      // 000000011114: BF0A4252
	s_cselect_b32 s21, s36, s60                                // 000000011118: 85153C24
	s_mov_b64 exec, s[20:21]                                   // 00000001111C: BEFE0114
	global_atomic_add_f32 v6, v177, s[8:9]                     // 000000011120: DD348000 0008B106
	global_atomic_add_f32 v6, v181, s[8:9] offset:256          // 000000011128: DD348100 0008B506
	s_mov_b64 exec, s[36:37]                                   // 000000011130: BEFE0124
	v_mov_b32_e32 v6, v72                                      // 000000011134: 7E0C0348
	s_mov_b64 s[60:61], 0                                      // 000000011138: BEBC0180
	v_readlane_b32 s82, v3, 20                                 // 00000001113C: D2890052 00012903
	s_and_b32 s82, s82, 0xffffff                               // 000000011144: 8652FF52 00FFFFFF
	s_cmp_lt_u32 s82, s66                                      // 00000001114C: BF0A4252
	s_cselect_b32 s20, s36, s60                                // 000000011150: 85143C24
	v_readlane_b32 s82, v3, 21                                 // 000000011154: D2890052 00012B03
	s_and_b32 s82, s82, 0xffffff                               // 00000001115C: 8652FF52 00FFFFFF
	s_cmp_lt_u32 s82, s66                                      // 000000011164: BF0A4252
	s_cselect_b32 s21, s36, s60                                // 000000011168: 85153C24
	s_mov_b64 exec, s[20:21]                                   // 00000001116C: BEFE0114
	global_atomic_add_f32 v6, v184, s[8:9]                     // 000000011170: DD348000 0008B806
	global_atomic_add_f32 v6, v188, s[8:9] offset:256          // 000000011178: DD348100 0008BC06
	s_mov_b64 exec, s[36:37]                                   // 000000011180: BEFE0124
	v_mov_b32_e32 v6, v73                                      // 000000011184: 7E0C0349
	s_mov_b64 s[60:61], 0                                      // 000000011188: BEBC0180
	v_readlane_b32 s82, v3, 22                                 // 00000001118C: D2890052 00012D03
	s_and_b32 s82, s82, 0xffffff                               // 000000011194: 8652FF52 00FFFFFF
	s_cmp_lt_u32 s82, s66                                      // 00000001119C: BF0A4252
	s_cselect_b32 s20, s36, s60                                // 0000000111A0: 85143C24
	v_readlane_b32 s82, v3, 23                                 // 0000000111A4: D2890052 00012F03
	s_and_b32 s82, s82, 0xffffff                               // 0000000111AC: 8652FF52 00FFFFFF
	s_cmp_lt_u32 s82, s66                                      // 0000000111B4: BF0A4252
	s_cselect_b32 s21, s36, s60                                // 0000000111B8: 85153C24
	s_mov_b64 exec, s[20:21]                                   // 0000000111BC: BEFE0114
	global_atomic_add_f32 v6, v185, s[8:9]                     // 0000000111C0: DD348000 0008B906
	global_atomic_add_f32 v6, v189, s[8:9] offset:256          // 0000000111C8: DD348100 0008BD06
	s_mov_b64 exec, s[36:37]                                   // 0000000111D0: BEFE0124
	v_mov_b32_e32 v6, v74                                      // 0000000111D4: 7E0C034A
	s_mov_b64 s[60:61], 0                                      // 0000000111D8: BEBC0180
	v_readlane_b32 s82, v3, 24                                 // 0000000111DC: D2890052 00013103
	s_and_b32 s82, s82, 0xffffff                               // 0000000111E4: 8652FF52 00FFFFFF
	s_cmp_lt_u32 s82, s66                                      // 0000000111EC: BF0A4252
	s_cselect_b32 s20, s36, s60                                // 0000000111F0: 85143C24
	v_readlane_b32 s82, v3, 25                                 // 0000000111F4: D2890052 00013303
	s_and_b32 s82, s82, 0xffffff                               // 0000000111FC: 8652FF52 00FFFFFF
	s_cmp_lt_u32 s82, s66                                      // 000000011204: BF0A4252
	s_cselect_b32 s21, s36, s60                                // 000000011208: 85153C24
	s_mov_b64 exec, s[20:21]                                   // 00000001120C: BEFE0114
	global_atomic_add_f32 v6, v192, s[8:9]                     // 000000011210: DD348000 0008C006
	global_atomic_add_f32 v6, v196, s[8:9] offset:256          // 000000011218: DD348100 0008C406
	s_mov_b64 exec, s[36:37]                                   // 000000011220: BEFE0124
	v_mov_b32_e32 v6, v75                                      // 000000011224: 7E0C034B
	s_mov_b64 s[60:61], 0                                      // 000000011228: BEBC0180
	v_readlane_b32 s82, v3, 26                                 // 00000001122C: D2890052 00013503
	s_and_b32 s82, s82, 0xffffff                               // 000000011234: 8652FF52 00FFFFFF
	s_cmp_lt_u32 s82, s66                                      // 00000001123C: BF0A4252
	s_cselect_b32 s20, s36, s60                                // 000000011240: 85143C24
	v_readlane_b32 s82, v3, 27                                 // 000000011244: D2890052 00013703
	s_and_b32 s82, s82, 0xffffff                               // 00000001124C: 8652FF52 00FFFFFF
	s_cmp_lt_u32 s82, s66                                      // 000000011254: BF0A4252
	s_cselect_b32 s21, s36, s60                                // 000000011258: 85153C24
	s_mov_b64 exec, s[20:21]                                   // 00000001125C: BEFE0114
	global_atomic_add_f32 v6, v193, s[8:9]                     // 000000011260: DD348000 0008C106
	global_atomic_add_f32 v6, v197, s[8:9] offset:256          // 000000011268: DD348100 0008C506
	s_mov_b64 exec, s[36:37]                                   // 000000011270: BEFE0124
	v_mov_b32_e32 v6, v76                                      // 000000011274: 7E0C034C
	s_mov_b64 s[60:61], 0                                      // 000000011278: BEBC0180
	v_readlane_b32 s82, v3, 28                                 // 00000001127C: D2890052 00013903
	s_and_b32 s82, s82, 0xffffff                               // 000000011284: 8652FF52 00FFFFFF
	s_cmp_lt_u32 s82, s66                                      // 00000001128C: BF0A4252
	s_cselect_b32 s20, s36, s60                                // 000000011290: 85143C24
	v_readlane_b32 s82, v3, 29                                 // 000000011294: D2890052 00013B03
	s_and_b32 s82, s82, 0xffffff                               // 00000001129C: 8652FF52 00FFFFFF
	s_cmp_lt_u32 s82, s66                                      // 0000000112A4: BF0A4252
	s_cselect_b32 s21, s36, s60                                // 0000000112A8: 85153C24
	s_mov_b64 exec, s[20:21]                                   // 0000000112AC: BEFE0114
	global_atomic_add_f32 v6, v200, s[8:9]                     // 0000000112B0: DD348000 0008C806
	global_atomic_add_f32 v6, v204, s[8:9] offset:256          // 0000000112B8: DD348100 0008CC06
	s_mov_b64 exec, s[36:37]                                   // 0000000112C0: BEFE0124
	v_mov_b32_e32 v6, v77                                      // 0000000112C4: 7E0C034D
	s_mov_b64 s[60:61], 0                                      // 0000000112C8: BEBC0180
	v_readlane_b32 s82, v3, 30                                 // 0000000112CC: D2890052 00013D03
	s_and_b32 s82, s82, 0xffffff                               // 0000000112D4: 8652FF52 00FFFFFF
	s_cmp_lt_u32 s82, s66                                      // 0000000112DC: BF0A4252
	s_cselect_b32 s20, s36, s60                                // 0000000112E0: 85143C24
	v_readlane_b32 s82, v3, 31                                 // 0000000112E4: D2890052 00013F03
	s_and_b32 s82, s82, 0xffffff                               // 0000000112EC: 8652FF52 00FFFFFF
	s_cmp_lt_u32 s82, s66                                      // 0000000112F4: BF0A4252
	s_cselect_b32 s21, s36, s60                                // 0000000112F8: 85153C24
	s_mov_b64 exec, s[20:21]                                   // 0000000112FC: BEFE0114
	global_atomic_add_f32 v6, v201, s[8:9]                     // 000000011300: DD348000 0008C906
	global_atomic_add_f32 v6, v205, s[8:9] offset:256          // 000000011308: DD348100 0008CD06
	s_mov_b64 exec, s[36:37]                                   // 000000011310: BEFE0124
	ds_write_b64 v20, v[146:147]                               // 000000011314: D89A0000 00009214
	ds_write_b64 v20, v[150:151] offset:4352                   // 00000001131C: D89A1100 00009614
	ds_write_b64 v20, v[154:155] offset:8704                   // 000000011324: D89A2200 00009A14
	ds_write_b64 v20, v[158:159] offset:13056                  // 00000001132C: D89A3300 00009E14
	ds_write_b64 v20, v[162:163] offset:17408                  // 000000011334: D89A4400 0000A214
	ds_write_b64 v20, v[166:167] offset:21760                  // 00000001133C: D89A5500 0000A614
	ds_write_b64 v20, v[170:171] offset:26112                  // 000000011344: D89A6600 0000AA14
	ds_write_b64 v20, v[174:175] offset:30464                  // 00000001134C: D89A7700 0000AE14
	ds_write_b64 v20, v[178:179] offset:2176                   // 000000011354: D89A0880 0000B214
	ds_write_b64 v20, v[182:183] offset:6528                   // 00000001135C: D89A1980 0000B614
	ds_write_b64 v20, v[186:187] offset:10880                  // 000000011364: D89A2A80 0000BA14
	ds_write_b64 v20, v[190:191] offset:15232                  // 00000001136C: D89A3B80 0000BE14
	ds_write_b64 v20, v[194:195] offset:19584                  // 000000011374: D89A4C80 0000C214
	ds_write_b64 v20, v[198:199] offset:23936                  // 00000001137C: D89A5D80 0000C614
	ds_write_b64 v20, v[202:203] offset:28288                  // 000000011384: D89A6E80 0000CA14
	ds_write_b64 v20, v[206:207] offset:32640                  // 00000001138C: D89A7F80 0000CE14
	s_waitcnt lgkmcnt(0)                                       // 000000011394: BF8CC07F
	s_barrier                                                  // 000000011398: BF8A0000
	ds_read_b32 v146, v21                                      // 00000001139C: D86C0000 92000015
	ds_read_b32 v147, v21 offset:64                            // 0000000113A4: D86C0040 93000015
	ds_read_b32 v150, v21 offset:2176                          // 0000000113AC: D86C0880 96000015
	ds_read_b32 v151, v21 offset:2240                          // 0000000113B4: D86C08C0 97000015
	ds_read_b32 v154, v21 offset:4352                          // 0000000113BC: D86C1100 9A000015
	ds_read_b32 v155, v21 offset:4416                          // 0000000113C4: D86C1140 9B000015
	ds_read_b32 v158, v21 offset:6528                          // 0000000113CC: D86C1980 9E000015
	ds_read_b32 v159, v21 offset:6592                          // 0000000113D4: D86C19C0 9F000015
	ds_read_b32 v162, v21 offset:8704                          // 0000000113DC: D86C2200 A2000015
	ds_read_b32 v163, v21 offset:8768                          // 0000000113E4: D86C2240 A3000015
	ds_read_b32 v166, v21 offset:10880                         // 0000000113EC: D86C2A80 A6000015
	ds_read_b32 v167, v21 offset:10944                         // 0000000113F4: D86C2AC0 A7000015
	ds_read_b32 v170, v21 offset:13056                         // 0000000113FC: D86C3300 AA000015
	ds_read_b32 v171, v21 offset:13120                         // 000000011404: D86C3340 AB000015
	ds_read_b32 v174, v21 offset:15232                         // 00000001140C: D86C3B80 AE000015
	ds_read_b32 v175, v21 offset:15296                         // 000000011414: D86C3BC0 AF000015
	ds_read_b32 v178, v21 offset:17408                         // 00000001141C: D86C4400 B2000015
	ds_read_b32 v179, v21 offset:17472                         // 000000011424: D86C4440 B3000015
	ds_read_b32 v182, v21 offset:19584                         // 00000001142C: D86C4C80 B6000015
	ds_read_b32 v183, v21 offset:19648                         // 000000011434: D86C4CC0 B7000015
	ds_read_b32 v186, v21 offset:21760                         // 00000001143C: D86C5500 BA000015
	ds_read_b32 v187, v21 offset:21824                         // 000000011444: D86C5540 BB000015
	ds_read_b32 v190, v21 offset:23936                         // 00000001144C: D86C5D80 BE000015
	ds_read_b32 v191, v21 offset:24000                         // 000000011454: D86C5DC0 BF000015
	ds_read_b32 v194, v21 offset:26112                         // 00000001145C: D86C6600 C2000015
	ds_read_b32 v195, v21 offset:26176                         // 000000011464: D86C6640 C3000015
	ds_read_b32 v198, v21 offset:28288                         // 00000001146C: D86C6E80 C6000015
	ds_read_b32 v199, v21 offset:28352                         // 000000011474: D86C6EC0 C7000015
	ds_read_b32 v202, v21 offset:30464                         // 00000001147C: D86C7700 CA000015
	ds_read_b32 v203, v21 offset:30528                         // 000000011484: D86C7740 CB000015
	ds_read_b32 v206, v21 offset:32640                         // 00000001148C: D86C7F80 CE000015
	ds_read_b32 v207, v21 offset:32704                         // 000000011494: D86C7FC0 CF000015
	s_waitcnt lgkmcnt(0)                                       // 00000001149C: BF8CC07F
	v_mov_b32_e32 v7, 0                                        // 0000000114A0: 7E0E0280
	s_mov_b64 exec, s[36:37]                                   // 0000000114A4: BEFE0124
	v_mov_b32_e32 v6, v62                                      // 0000000114A8: 7E0C033E
	s_mov_b64 s[60:61], 0                                      // 0000000114AC: BEBC0180
	v_readlane_b32 s82, v3, 0                                  // 0000000114B0: D2890052 00010103
	s_and_b32 s82, s82, 0xffffff                               // 0000000114B8: 8652FF52 00FFFFFF
	s_cmp_lt_u32 s82, s66                                      // 0000000114C0: BF0A4252
	s_cselect_b32 s20, s36, s60                                // 0000000114C4: 85143C24
	v_readlane_b32 s82, v3, 1                                  // 0000000114C8: D2890052 00010303
	s_and_b32 s82, s82, 0xffffff                               // 0000000114D0: 8652FF52 00FFFFFF
	s_cmp_lt_u32 s82, s66                                      // 0000000114D8: BF0A4252
	s_cselect_b32 s21, s36, s60                                // 0000000114DC: 85153C24
	s_mov_b64 exec, s[20:21]                                   // 0000000114E0: BEFE0114
	global_atomic_add_f32 v6, v146, s[8:9] offset:8            // 0000000114E4: DD348008 00089206
	global_atomic_add_f32 v6, v150, s[8:9] offset:264          // 0000000114EC: DD348108 00089606
	s_mov_b64 exec, s[36:37]                                   // 0000000114F4: BEFE0124
	v_mov_b32_e32 v6, v63                                      // 0000000114F8: 7E0C033F
	s_mov_b64 s[60:61], 0                                      // 0000000114FC: BEBC0180
	v_readlane_b32 s82, v3, 2                                  // 000000011500: D2890052 00010503
	s_and_b32 s82, s82, 0xffffff                               // 000000011508: 8652FF52 00FFFFFF
	s_cmp_lt_u32 s82, s66                                      // 000000011510: BF0A4252
	s_cselect_b32 s20, s36, s60                                // 000000011514: 85143C24
	v_readlane_b32 s82, v3, 3                                  // 000000011518: D2890052 00010703
	s_and_b32 s82, s82, 0xffffff                               // 000000011520: 8652FF52 00FFFFFF
	s_cmp_lt_u32 s82, s66                                      // 000000011528: BF0A4252
	s_cselect_b32 s21, s36, s60                                // 00000001152C: 85153C24
	s_mov_b64 exec, s[20:21]                                   // 000000011530: BEFE0114
	global_atomic_add_f32 v6, v147, s[8:9] offset:8            // 000000011534: DD348008 00089306
	global_atomic_add_f32 v6, v151, s[8:9] offset:264          // 00000001153C: DD348108 00089706
	s_mov_b64 exec, s[36:37]                                   // 000000011544: BEFE0124
	v_mov_b32_e32 v6, v64                                      // 000000011548: 7E0C0340
	s_mov_b64 s[60:61], 0                                      // 00000001154C: BEBC0180
	v_readlane_b32 s82, v3, 4                                  // 000000011550: D2890052 00010903
	s_and_b32 s82, s82, 0xffffff                               // 000000011558: 8652FF52 00FFFFFF
	s_cmp_lt_u32 s82, s66                                      // 000000011560: BF0A4252
	s_cselect_b32 s20, s36, s60                                // 000000011564: 85143C24
	v_readlane_b32 s82, v3, 5                                  // 000000011568: D2890052 00010B03
	s_and_b32 s82, s82, 0xffffff                               // 000000011570: 8652FF52 00FFFFFF
	s_cmp_lt_u32 s82, s66                                      // 000000011578: BF0A4252
	s_cselect_b32 s21, s36, s60                                // 00000001157C: 85153C24
	s_mov_b64 exec, s[20:21]                                   // 000000011580: BEFE0114
	global_atomic_add_f32 v6, v154, s[8:9] offset:8            // 000000011584: DD348008 00089A06
	global_atomic_add_f32 v6, v158, s[8:9] offset:264          // 00000001158C: DD348108 00089E06
	s_mov_b64 exec, s[36:37]                                   // 000000011594: BEFE0124
	v_mov_b32_e32 v6, v65                                      // 000000011598: 7E0C0341
	s_mov_b64 s[60:61], 0                                      // 00000001159C: BEBC0180
	v_readlane_b32 s82, v3, 6                                  // 0000000115A0: D2890052 00010D03
	s_and_b32 s82, s82, 0xffffff                               // 0000000115A8: 8652FF52 00FFFFFF
	s_cmp_lt_u32 s82, s66                                      // 0000000115B0: BF0A4252
	s_cselect_b32 s20, s36, s60                                // 0000000115B4: 85143C24
	v_readlane_b32 s82, v3, 7                                  // 0000000115B8: D2890052 00010F03
	s_and_b32 s82, s82, 0xffffff                               // 0000000115C0: 8652FF52 00FFFFFF
	s_cmp_lt_u32 s82, s66                                      // 0000000115C8: BF0A4252
	s_cselect_b32 s21, s36, s60                                // 0000000115CC: 85153C24
	s_mov_b64 exec, s[20:21]                                   // 0000000115D0: BEFE0114
	global_atomic_add_f32 v6, v155, s[8:9] offset:8            // 0000000115D4: DD348008 00089B06
	global_atomic_add_f32 v6, v159, s[8:9] offset:264          // 0000000115DC: DD348108 00089F06
	s_mov_b64 exec, s[36:37]                                   // 0000000115E4: BEFE0124
	v_mov_b32_e32 v6, v66                                      // 0000000115E8: 7E0C0342
	s_mov_b64 s[60:61], 0                                      // 0000000115EC: BEBC0180
	v_readlane_b32 s82, v3, 8                                  // 0000000115F0: D2890052 00011103
	s_and_b32 s82, s82, 0xffffff                               // 0000000115F8: 8652FF52 00FFFFFF
	s_cmp_lt_u32 s82, s66                                      // 000000011600: BF0A4252
	s_cselect_b32 s20, s36, s60                                // 000000011604: 85143C24
	v_readlane_b32 s82, v3, 9                                  // 000000011608: D2890052 00011303
	s_and_b32 s82, s82, 0xffffff                               // 000000011610: 8652FF52 00FFFFFF
	s_cmp_lt_u32 s82, s66                                      // 000000011618: BF0A4252
	s_cselect_b32 s21, s36, s60                                // 00000001161C: 85153C24
	s_mov_b64 exec, s[20:21]                                   // 000000011620: BEFE0114
	global_atomic_add_f32 v6, v162, s[8:9] offset:8            // 000000011624: DD348008 0008A206
	global_atomic_add_f32 v6, v166, s[8:9] offset:264          // 00000001162C: DD348108 0008A606
	s_mov_b64 exec, s[36:37]                                   // 000000011634: BEFE0124
	v_mov_b32_e32 v6, v67                                      // 000000011638: 7E0C0343
	s_mov_b64 s[60:61], 0                                      // 00000001163C: BEBC0180
	v_readlane_b32 s82, v3, 10                                 // 000000011640: D2890052 00011503
	s_and_b32 s82, s82, 0xffffff                               // 000000011648: 8652FF52 00FFFFFF
	s_cmp_lt_u32 s82, s66                                      // 000000011650: BF0A4252
	s_cselect_b32 s20, s36, s60                                // 000000011654: 85143C24
	v_readlane_b32 s82, v3, 11                                 // 000000011658: D2890052 00011703
	s_and_b32 s82, s82, 0xffffff                               // 000000011660: 8652FF52 00FFFFFF
	s_cmp_lt_u32 s82, s66                                      // 000000011668: BF0A4252
	s_cselect_b32 s21, s36, s60                                // 00000001166C: 85153C24
	s_mov_b64 exec, s[20:21]                                   // 000000011670: BEFE0114
	global_atomic_add_f32 v6, v163, s[8:9] offset:8            // 000000011674: DD348008 0008A306
	global_atomic_add_f32 v6, v167, s[8:9] offset:264          // 00000001167C: DD348108 0008A706
	s_mov_b64 exec, s[36:37]                                   // 000000011684: BEFE0124
	v_mov_b32_e32 v6, v68                                      // 000000011688: 7E0C0344
	s_mov_b64 s[60:61], 0                                      // 00000001168C: BEBC0180
	v_readlane_b32 s82, v3, 12                                 // 000000011690: D2890052 00011903
	s_and_b32 s82, s82, 0xffffff                               // 000000011698: 8652FF52 00FFFFFF
	s_cmp_lt_u32 s82, s66                                      // 0000000116A0: BF0A4252
	s_cselect_b32 s20, s36, s60                                // 0000000116A4: 85143C24
	v_readlane_b32 s82, v3, 13                                 // 0000000116A8: D2890052 00011B03
	s_and_b32 s82, s82, 0xffffff                               // 0000000116B0: 8652FF52 00FFFFFF
	s_cmp_lt_u32 s82, s66                                      // 0000000116B8: BF0A4252
	s_cselect_b32 s21, s36, s60                                // 0000000116BC: 85153C24
	s_mov_b64 exec, s[20:21]                                   // 0000000116C0: BEFE0114
	global_atomic_add_f32 v6, v170, s[8:9] offset:8            // 0000000116C4: DD348008 0008AA06
	global_atomic_add_f32 v6, v174, s[8:9] offset:264          // 0000000116CC: DD348108 0008AE06
	s_mov_b64 exec, s[36:37]                                   // 0000000116D4: BEFE0124
	v_mov_b32_e32 v6, v69                                      // 0000000116D8: 7E0C0345
	s_mov_b64 s[60:61], 0                                      // 0000000116DC: BEBC0180
	v_readlane_b32 s82, v3, 14                                 // 0000000116E0: D2890052 00011D03
	s_and_b32 s82, s82, 0xffffff                               // 0000000116E8: 8652FF52 00FFFFFF
	s_cmp_lt_u32 s82, s66                                      // 0000000116F0: BF0A4252
	s_cselect_b32 s20, s36, s60                                // 0000000116F4: 85143C24
	v_readlane_b32 s82, v3, 15                                 // 0000000116F8: D2890052 00011F03
	s_and_b32 s82, s82, 0xffffff                               // 000000011700: 8652FF52 00FFFFFF
	s_cmp_lt_u32 s82, s66                                      // 000000011708: BF0A4252
	s_cselect_b32 s21, s36, s60                                // 00000001170C: 85153C24
	s_mov_b64 exec, s[20:21]                                   // 000000011710: BEFE0114
	global_atomic_add_f32 v6, v171, s[8:9] offset:8            // 000000011714: DD348008 0008AB06
	global_atomic_add_f32 v6, v175, s[8:9] offset:264          // 00000001171C: DD348108 0008AF06
	s_mov_b64 exec, s[36:37]                                   // 000000011724: BEFE0124
	v_mov_b32_e32 v6, v70                                      // 000000011728: 7E0C0346
	s_mov_b64 s[60:61], 0                                      // 00000001172C: BEBC0180
	v_readlane_b32 s82, v3, 16                                 // 000000011730: D2890052 00012103
	s_and_b32 s82, s82, 0xffffff                               // 000000011738: 8652FF52 00FFFFFF
	s_cmp_lt_u32 s82, s66                                      // 000000011740: BF0A4252
	s_cselect_b32 s20, s36, s60                                // 000000011744: 85143C24
	v_readlane_b32 s82, v3, 17                                 // 000000011748: D2890052 00012303
	s_and_b32 s82, s82, 0xffffff                               // 000000011750: 8652FF52 00FFFFFF
	s_cmp_lt_u32 s82, s66                                      // 000000011758: BF0A4252
	s_cselect_b32 s21, s36, s60                                // 00000001175C: 85153C24
	s_mov_b64 exec, s[20:21]                                   // 000000011760: BEFE0114
	global_atomic_add_f32 v6, v178, s[8:9] offset:8            // 000000011764: DD348008 0008B206
	global_atomic_add_f32 v6, v182, s[8:9] offset:264          // 00000001176C: DD348108 0008B606
	s_mov_b64 exec, s[36:37]                                   // 000000011774: BEFE0124
	v_mov_b32_e32 v6, v71                                      // 000000011778: 7E0C0347
	s_mov_b64 s[60:61], 0                                      // 00000001177C: BEBC0180
	v_readlane_b32 s82, v3, 18                                 // 000000011780: D2890052 00012503
	s_and_b32 s82, s82, 0xffffff                               // 000000011788: 8652FF52 00FFFFFF
	s_cmp_lt_u32 s82, s66                                      // 000000011790: BF0A4252
	s_cselect_b32 s20, s36, s60                                // 000000011794: 85143C24
	v_readlane_b32 s82, v3, 19                                 // 000000011798: D2890052 00012703
	s_and_b32 s82, s82, 0xffffff                               // 0000000117A0: 8652FF52 00FFFFFF
	s_cmp_lt_u32 s82, s66                                      // 0000000117A8: BF0A4252
	s_cselect_b32 s21, s36, s60                                // 0000000117AC: 85153C24
	s_mov_b64 exec, s[20:21]                                   // 0000000117B0: BEFE0114
	global_atomic_add_f32 v6, v179, s[8:9] offset:8            // 0000000117B4: DD348008 0008B306
	global_atomic_add_f32 v6, v183, s[8:9] offset:264          // 0000000117BC: DD348108 0008B706
	s_mov_b64 exec, s[36:37]                                   // 0000000117C4: BEFE0124
	v_mov_b32_e32 v6, v72                                      // 0000000117C8: 7E0C0348
	s_mov_b64 s[60:61], 0                                      // 0000000117CC: BEBC0180
	v_readlane_b32 s82, v3, 20                                 // 0000000117D0: D2890052 00012903
	s_and_b32 s82, s82, 0xffffff                               // 0000000117D8: 8652FF52 00FFFFFF
	s_cmp_lt_u32 s82, s66                                      // 0000000117E0: BF0A4252
	s_cselect_b32 s20, s36, s60                                // 0000000117E4: 85143C24
	v_readlane_b32 s82, v3, 21                                 // 0000000117E8: D2890052 00012B03
	s_and_b32 s82, s82, 0xffffff                               // 0000000117F0: 8652FF52 00FFFFFF
	s_cmp_lt_u32 s82, s66                                      // 0000000117F8: BF0A4252
	s_cselect_b32 s21, s36, s60                                // 0000000117FC: 85153C24
	s_mov_b64 exec, s[20:21]                                   // 000000011800: BEFE0114
	global_atomic_add_f32 v6, v186, s[8:9] offset:8            // 000000011804: DD348008 0008BA06
	global_atomic_add_f32 v6, v190, s[8:9] offset:264          // 00000001180C: DD348108 0008BE06
	s_mov_b64 exec, s[36:37]                                   // 000000011814: BEFE0124
	v_mov_b32_e32 v6, v73                                      // 000000011818: 7E0C0349
	s_mov_b64 s[60:61], 0                                      // 00000001181C: BEBC0180
	v_readlane_b32 s82, v3, 22                                 // 000000011820: D2890052 00012D03
	s_and_b32 s82, s82, 0xffffff                               // 000000011828: 8652FF52 00FFFFFF
	s_cmp_lt_u32 s82, s66                                      // 000000011830: BF0A4252
	s_cselect_b32 s20, s36, s60                                // 000000011834: 85143C24
	v_readlane_b32 s82, v3, 23                                 // 000000011838: D2890052 00012F03
	s_and_b32 s82, s82, 0xffffff                               // 000000011840: 8652FF52 00FFFFFF
	s_cmp_lt_u32 s82, s66                                      // 000000011848: BF0A4252
	s_cselect_b32 s21, s36, s60                                // 00000001184C: 85153C24
	s_mov_b64 exec, s[20:21]                                   // 000000011850: BEFE0114
	global_atomic_add_f32 v6, v187, s[8:9] offset:8            // 000000011854: DD348008 0008BB06
	global_atomic_add_f32 v6, v191, s[8:9] offset:264          // 00000001185C: DD348108 0008BF06
	s_mov_b64 exec, s[36:37]                                   // 000000011864: BEFE0124
	v_mov_b32_e32 v6, v74                                      // 000000011868: 7E0C034A
	s_mov_b64 s[60:61], 0                                      // 00000001186C: BEBC0180
	v_readlane_b32 s82, v3, 24                                 // 000000011870: D2890052 00013103
	s_and_b32 s82, s82, 0xffffff                               // 000000011878: 8652FF52 00FFFFFF
	s_cmp_lt_u32 s82, s66                                      // 000000011880: BF0A4252
	s_cselect_b32 s20, s36, s60                                // 000000011884: 85143C24
	v_readlane_b32 s82, v3, 25                                 // 000000011888: D2890052 00013303
	s_and_b32 s82, s82, 0xffffff                               // 000000011890: 8652FF52 00FFFFFF
	s_cmp_lt_u32 s82, s66                                      // 000000011898: BF0A4252
	s_cselect_b32 s21, s36, s60                                // 00000001189C: 85153C24
	s_mov_b64 exec, s[20:21]                                   // 0000000118A0: BEFE0114
	global_atomic_add_f32 v6, v194, s[8:9] offset:8            // 0000000118A4: DD348008 0008C206
	global_atomic_add_f32 v6, v198, s[8:9] offset:264          // 0000000118AC: DD348108 0008C606
	s_mov_b64 exec, s[36:37]                                   // 0000000118B4: BEFE0124
	v_mov_b32_e32 v6, v75                                      // 0000000118B8: 7E0C034B
	s_mov_b64 s[60:61], 0                                      // 0000000118BC: BEBC0180
	v_readlane_b32 s82, v3, 26                                 // 0000000118C0: D2890052 00013503
	s_and_b32 s82, s82, 0xffffff                               // 0000000118C8: 8652FF52 00FFFFFF
	s_cmp_lt_u32 s82, s66                                      // 0000000118D0: BF0A4252
	s_cselect_b32 s20, s36, s60                                // 0000000118D4: 85143C24
	v_readlane_b32 s82, v3, 27                                 // 0000000118D8: D2890052 00013703
	s_and_b32 s82, s82, 0xffffff                               // 0000000118E0: 8652FF52 00FFFFFF
	s_cmp_lt_u32 s82, s66                                      // 0000000118E8: BF0A4252
	s_cselect_b32 s21, s36, s60                                // 0000000118EC: 85153C24
	s_mov_b64 exec, s[20:21]                                   // 0000000118F0: BEFE0114
	global_atomic_add_f32 v6, v195, s[8:9] offset:8            // 0000000118F4: DD348008 0008C306
	global_atomic_add_f32 v6, v199, s[8:9] offset:264          // 0000000118FC: DD348108 0008C706
	s_mov_b64 exec, s[36:37]                                   // 000000011904: BEFE0124
	v_mov_b32_e32 v6, v76                                      // 000000011908: 7E0C034C
	s_mov_b64 s[60:61], 0                                      // 00000001190C: BEBC0180
	v_readlane_b32 s82, v3, 28                                 // 000000011910: D2890052 00013903
	s_and_b32 s82, s82, 0xffffff                               // 000000011918: 8652FF52 00FFFFFF
	s_cmp_lt_u32 s82, s66                                      // 000000011920: BF0A4252
	s_cselect_b32 s20, s36, s60                                // 000000011924: 85143C24
	v_readlane_b32 s82, v3, 29                                 // 000000011928: D2890052 00013B03
	s_and_b32 s82, s82, 0xffffff                               // 000000011930: 8652FF52 00FFFFFF
	s_cmp_lt_u32 s82, s66                                      // 000000011938: BF0A4252
	s_cselect_b32 s21, s36, s60                                // 00000001193C: 85153C24
	s_mov_b64 exec, s[20:21]                                   // 000000011940: BEFE0114
	global_atomic_add_f32 v6, v202, s[8:9] offset:8            // 000000011944: DD348008 0008CA06
	global_atomic_add_f32 v6, v206, s[8:9] offset:264          // 00000001194C: DD348108 0008CE06
	s_mov_b64 exec, s[36:37]                                   // 000000011954: BEFE0124
	v_mov_b32_e32 v6, v77                                      // 000000011958: 7E0C034D
	s_mov_b64 s[60:61], 0                                      // 00000001195C: BEBC0180
	v_readlane_b32 s82, v3, 30                                 // 000000011960: D2890052 00013D03
	s_and_b32 s82, s82, 0xffffff                               // 000000011968: 8652FF52 00FFFFFF
	s_cmp_lt_u32 s82, s66                                      // 000000011970: BF0A4252
	s_cselect_b32 s20, s36, s60                                // 000000011974: 85143C24
	v_readlane_b32 s82, v3, 31                                 // 000000011978: D2890052 00013F03
	s_and_b32 s82, s82, 0xffffff                               // 000000011980: 8652FF52 00FFFFFF
	s_cmp_lt_u32 s82, s66                                      // 000000011988: BF0A4252
	s_cselect_b32 s21, s36, s60                                // 00000001198C: 85153C24
	s_mov_b64 exec, s[20:21]                                   // 000000011990: BEFE0114
	global_atomic_add_f32 v6, v203, s[8:9] offset:8            // 000000011994: DD348008 0008CB06
	global_atomic_add_f32 v6, v207, s[8:9] offset:264          // 00000001199C: DD348108 0008CF06
	s_mov_b64 exec, s[36:37]                                   // 0000000119A4: BEFE0124
	s_branch label_3BEE                                        // 0000000119A8: BF820000

00000000000119ac <label_3BEE>:
	s_waitcnt vmcnt(0) expcnt(0) lgkmcnt(0)                    // 0000000119AC: BF8C0000
	s_endpgm                                                   // 0000000119B0: BF810000
